;; amdgpu-corpus repo=ROCm/rocFFT kind=compiled arch=gfx1100 opt=O3
	.text
	.amdgcn_target "amdgcn-amd-amdhsa--gfx1100"
	.amdhsa_code_object_version 6
	.protected	fft_rtc_back_len2160_factors_10_6_6_6_wgs_60_tpt_60_halfLds_half_ip_CI_unitstride_sbrr_R2C_dirReg ; -- Begin function fft_rtc_back_len2160_factors_10_6_6_6_wgs_60_tpt_60_halfLds_half_ip_CI_unitstride_sbrr_R2C_dirReg
	.globl	fft_rtc_back_len2160_factors_10_6_6_6_wgs_60_tpt_60_halfLds_half_ip_CI_unitstride_sbrr_R2C_dirReg
	.p2align	8
	.type	fft_rtc_back_len2160_factors_10_6_6_6_wgs_60_tpt_60_halfLds_half_ip_CI_unitstride_sbrr_R2C_dirReg,@function
fft_rtc_back_len2160_factors_10_6_6_6_wgs_60_tpt_60_halfLds_half_ip_CI_unitstride_sbrr_R2C_dirReg: ; @fft_rtc_back_len2160_factors_10_6_6_6_wgs_60_tpt_60_halfLds_half_ip_CI_unitstride_sbrr_R2C_dirReg
; %bb.0:
	s_clause 0x2
	s_load_b128 s[4:7], s[0:1], 0x0
	s_load_b64 s[8:9], s[0:1], 0x50
	s_load_b64 s[10:11], s[0:1], 0x18
	v_mul_u32_u24_e32 v1, 0x445, v0
	v_mov_b32_e32 v3, 0
	v_mov_b32_e32 v4, 0
	s_delay_alu instid0(VALU_DEP_3) | instskip(SKIP_1) | instid1(VALU_DEP_1)
	v_lshrrev_b32_e32 v2, 16, v1
	v_mov_b32_e32 v1, 0
	v_dual_mov_b32 v6, v1 :: v_dual_add_nc_u32 v5, s15, v2
	s_waitcnt lgkmcnt(0)
	v_cmp_lt_u64_e64 s2, s[6:7], 2
	s_delay_alu instid0(VALU_DEP_1)
	s_and_b32 vcc_lo, exec_lo, s2
	s_cbranch_vccnz .LBB0_8
; %bb.1:
	s_load_b64 s[2:3], s[0:1], 0x10
	v_mov_b32_e32 v3, 0
	s_add_u32 s12, s10, 8
	v_mov_b32_e32 v4, 0
	s_addc_u32 s13, s11, 0
	s_mov_b64 s[16:17], 1
	s_waitcnt lgkmcnt(0)
	s_add_u32 s14, s2, 8
	s_addc_u32 s15, s3, 0
.LBB0_2:                                ; =>This Inner Loop Header: Depth=1
	s_load_b64 s[18:19], s[14:15], 0x0
                                        ; implicit-def: $vgpr7_vgpr8
	s_mov_b32 s2, exec_lo
	s_waitcnt lgkmcnt(0)
	v_or_b32_e32 v2, s19, v6
	s_delay_alu instid0(VALU_DEP_1)
	v_cmpx_ne_u64_e32 0, v[1:2]
	s_xor_b32 s3, exec_lo, s2
	s_cbranch_execz .LBB0_4
; %bb.3:                                ;   in Loop: Header=BB0_2 Depth=1
	v_cvt_f32_u32_e32 v2, s18
	v_cvt_f32_u32_e32 v7, s19
	s_sub_u32 s2, 0, s18
	s_subb_u32 s20, 0, s19
	s_delay_alu instid0(VALU_DEP_1) | instskip(NEXT) | instid1(VALU_DEP_1)
	v_fmac_f32_e32 v2, 0x4f800000, v7
	v_rcp_f32_e32 v2, v2
	s_waitcnt_depctr 0xfff
	v_mul_f32_e32 v2, 0x5f7ffffc, v2
	s_delay_alu instid0(VALU_DEP_1) | instskip(NEXT) | instid1(VALU_DEP_1)
	v_mul_f32_e32 v7, 0x2f800000, v2
	v_trunc_f32_e32 v7, v7
	s_delay_alu instid0(VALU_DEP_1) | instskip(SKIP_1) | instid1(VALU_DEP_2)
	v_fmac_f32_e32 v2, 0xcf800000, v7
	v_cvt_u32_f32_e32 v7, v7
	v_cvt_u32_f32_e32 v2, v2
	s_delay_alu instid0(VALU_DEP_2) | instskip(NEXT) | instid1(VALU_DEP_2)
	v_mul_lo_u32 v8, s2, v7
	v_mul_hi_u32 v9, s2, v2
	v_mul_lo_u32 v10, s20, v2
	s_delay_alu instid0(VALU_DEP_2) | instskip(SKIP_1) | instid1(VALU_DEP_2)
	v_add_nc_u32_e32 v8, v9, v8
	v_mul_lo_u32 v9, s2, v2
	v_add_nc_u32_e32 v8, v8, v10
	s_delay_alu instid0(VALU_DEP_2) | instskip(NEXT) | instid1(VALU_DEP_2)
	v_mul_hi_u32 v10, v2, v9
	v_mul_lo_u32 v11, v2, v8
	v_mul_hi_u32 v12, v2, v8
	v_mul_hi_u32 v13, v7, v9
	v_mul_lo_u32 v9, v7, v9
	v_mul_hi_u32 v14, v7, v8
	v_mul_lo_u32 v8, v7, v8
	v_add_co_u32 v10, vcc_lo, v10, v11
	v_add_co_ci_u32_e32 v11, vcc_lo, 0, v12, vcc_lo
	s_delay_alu instid0(VALU_DEP_2) | instskip(NEXT) | instid1(VALU_DEP_2)
	v_add_co_u32 v9, vcc_lo, v10, v9
	v_add_co_ci_u32_e32 v9, vcc_lo, v11, v13, vcc_lo
	v_add_co_ci_u32_e32 v10, vcc_lo, 0, v14, vcc_lo
	s_delay_alu instid0(VALU_DEP_2) | instskip(NEXT) | instid1(VALU_DEP_2)
	v_add_co_u32 v8, vcc_lo, v9, v8
	v_add_co_ci_u32_e32 v9, vcc_lo, 0, v10, vcc_lo
	s_delay_alu instid0(VALU_DEP_2) | instskip(NEXT) | instid1(VALU_DEP_2)
	v_add_co_u32 v2, vcc_lo, v2, v8
	v_add_co_ci_u32_e32 v7, vcc_lo, v7, v9, vcc_lo
	s_delay_alu instid0(VALU_DEP_2) | instskip(SKIP_1) | instid1(VALU_DEP_3)
	v_mul_hi_u32 v8, s2, v2
	v_mul_lo_u32 v10, s20, v2
	v_mul_lo_u32 v9, s2, v7
	s_delay_alu instid0(VALU_DEP_1) | instskip(SKIP_1) | instid1(VALU_DEP_2)
	v_add_nc_u32_e32 v8, v8, v9
	v_mul_lo_u32 v9, s2, v2
	v_add_nc_u32_e32 v8, v8, v10
	s_delay_alu instid0(VALU_DEP_2) | instskip(NEXT) | instid1(VALU_DEP_2)
	v_mul_hi_u32 v10, v2, v9
	v_mul_lo_u32 v11, v2, v8
	v_mul_hi_u32 v12, v2, v8
	v_mul_hi_u32 v13, v7, v9
	v_mul_lo_u32 v9, v7, v9
	v_mul_hi_u32 v14, v7, v8
	v_mul_lo_u32 v8, v7, v8
	v_add_co_u32 v10, vcc_lo, v10, v11
	v_add_co_ci_u32_e32 v11, vcc_lo, 0, v12, vcc_lo
	s_delay_alu instid0(VALU_DEP_2) | instskip(NEXT) | instid1(VALU_DEP_2)
	v_add_co_u32 v9, vcc_lo, v10, v9
	v_add_co_ci_u32_e32 v9, vcc_lo, v11, v13, vcc_lo
	v_add_co_ci_u32_e32 v10, vcc_lo, 0, v14, vcc_lo
	s_delay_alu instid0(VALU_DEP_2) | instskip(NEXT) | instid1(VALU_DEP_2)
	v_add_co_u32 v8, vcc_lo, v9, v8
	v_add_co_ci_u32_e32 v9, vcc_lo, 0, v10, vcc_lo
	s_delay_alu instid0(VALU_DEP_2) | instskip(NEXT) | instid1(VALU_DEP_2)
	v_add_co_u32 v2, vcc_lo, v2, v8
	v_add_co_ci_u32_e32 v13, vcc_lo, v7, v9, vcc_lo
	s_delay_alu instid0(VALU_DEP_2) | instskip(SKIP_1) | instid1(VALU_DEP_3)
	v_mul_hi_u32 v14, v5, v2
	v_mad_u64_u32 v[9:10], null, v6, v2, 0
	v_mad_u64_u32 v[7:8], null, v5, v13, 0
	;; [unrolled: 1-line block ×3, first 2 shown]
	s_delay_alu instid0(VALU_DEP_2) | instskip(NEXT) | instid1(VALU_DEP_3)
	v_add_co_u32 v2, vcc_lo, v14, v7
	v_add_co_ci_u32_e32 v7, vcc_lo, 0, v8, vcc_lo
	s_delay_alu instid0(VALU_DEP_2) | instskip(NEXT) | instid1(VALU_DEP_2)
	v_add_co_u32 v2, vcc_lo, v2, v9
	v_add_co_ci_u32_e32 v2, vcc_lo, v7, v10, vcc_lo
	v_add_co_ci_u32_e32 v7, vcc_lo, 0, v12, vcc_lo
	s_delay_alu instid0(VALU_DEP_2) | instskip(NEXT) | instid1(VALU_DEP_2)
	v_add_co_u32 v2, vcc_lo, v2, v11
	v_add_co_ci_u32_e32 v9, vcc_lo, 0, v7, vcc_lo
	s_delay_alu instid0(VALU_DEP_2) | instskip(SKIP_1) | instid1(VALU_DEP_3)
	v_mul_lo_u32 v10, s19, v2
	v_mad_u64_u32 v[7:8], null, s18, v2, 0
	v_mul_lo_u32 v11, s18, v9
	s_delay_alu instid0(VALU_DEP_2) | instskip(NEXT) | instid1(VALU_DEP_2)
	v_sub_co_u32 v7, vcc_lo, v5, v7
	v_add3_u32 v8, v8, v11, v10
	s_delay_alu instid0(VALU_DEP_1) | instskip(NEXT) | instid1(VALU_DEP_1)
	v_sub_nc_u32_e32 v10, v6, v8
	v_subrev_co_ci_u32_e64 v10, s2, s19, v10, vcc_lo
	v_add_co_u32 v11, s2, v2, 2
	s_delay_alu instid0(VALU_DEP_1) | instskip(SKIP_3) | instid1(VALU_DEP_3)
	v_add_co_ci_u32_e64 v12, s2, 0, v9, s2
	v_sub_co_u32 v13, s2, v7, s18
	v_sub_co_ci_u32_e32 v8, vcc_lo, v6, v8, vcc_lo
	v_subrev_co_ci_u32_e64 v10, s2, 0, v10, s2
	v_cmp_le_u32_e32 vcc_lo, s18, v13
	s_delay_alu instid0(VALU_DEP_3) | instskip(SKIP_1) | instid1(VALU_DEP_4)
	v_cmp_eq_u32_e64 s2, s19, v8
	v_cndmask_b32_e64 v13, 0, -1, vcc_lo
	v_cmp_le_u32_e32 vcc_lo, s19, v10
	v_cndmask_b32_e64 v14, 0, -1, vcc_lo
	v_cmp_le_u32_e32 vcc_lo, s18, v7
	;; [unrolled: 2-line block ×3, first 2 shown]
	v_cndmask_b32_e64 v15, 0, -1, vcc_lo
	v_cmp_eq_u32_e32 vcc_lo, s19, v10
	s_delay_alu instid0(VALU_DEP_2) | instskip(SKIP_3) | instid1(VALU_DEP_3)
	v_cndmask_b32_e64 v7, v15, v7, s2
	v_cndmask_b32_e32 v10, v14, v13, vcc_lo
	v_add_co_u32 v13, vcc_lo, v2, 1
	v_add_co_ci_u32_e32 v14, vcc_lo, 0, v9, vcc_lo
	v_cmp_ne_u32_e32 vcc_lo, 0, v10
	s_delay_alu instid0(VALU_DEP_2) | instskip(NEXT) | instid1(VALU_DEP_4)
	v_cndmask_b32_e32 v8, v14, v12, vcc_lo
	v_cndmask_b32_e32 v10, v13, v11, vcc_lo
	v_cmp_ne_u32_e32 vcc_lo, 0, v7
	s_delay_alu instid0(VALU_DEP_2)
	v_dual_cndmask_b32 v7, v2, v10 :: v_dual_cndmask_b32 v8, v9, v8
.LBB0_4:                                ;   in Loop: Header=BB0_2 Depth=1
	s_and_not1_saveexec_b32 s2, s3
	s_cbranch_execz .LBB0_6
; %bb.5:                                ;   in Loop: Header=BB0_2 Depth=1
	v_cvt_f32_u32_e32 v2, s18
	s_sub_i32 s3, 0, s18
	s_delay_alu instid0(VALU_DEP_1) | instskip(SKIP_2) | instid1(VALU_DEP_1)
	v_rcp_iflag_f32_e32 v2, v2
	s_waitcnt_depctr 0xfff
	v_mul_f32_e32 v2, 0x4f7ffffe, v2
	v_cvt_u32_f32_e32 v2, v2
	s_delay_alu instid0(VALU_DEP_1) | instskip(NEXT) | instid1(VALU_DEP_1)
	v_mul_lo_u32 v7, s3, v2
	v_mul_hi_u32 v7, v2, v7
	s_delay_alu instid0(VALU_DEP_1) | instskip(NEXT) | instid1(VALU_DEP_1)
	v_add_nc_u32_e32 v2, v2, v7
	v_mul_hi_u32 v2, v5, v2
	s_delay_alu instid0(VALU_DEP_1) | instskip(SKIP_1) | instid1(VALU_DEP_2)
	v_mul_lo_u32 v7, v2, s18
	v_add_nc_u32_e32 v8, 1, v2
	v_sub_nc_u32_e32 v7, v5, v7
	s_delay_alu instid0(VALU_DEP_1) | instskip(SKIP_1) | instid1(VALU_DEP_2)
	v_subrev_nc_u32_e32 v9, s18, v7
	v_cmp_le_u32_e32 vcc_lo, s18, v7
	v_dual_cndmask_b32 v7, v7, v9 :: v_dual_cndmask_b32 v2, v2, v8
	s_delay_alu instid0(VALU_DEP_1) | instskip(NEXT) | instid1(VALU_DEP_2)
	v_cmp_le_u32_e32 vcc_lo, s18, v7
	v_add_nc_u32_e32 v8, 1, v2
	s_delay_alu instid0(VALU_DEP_1)
	v_dual_cndmask_b32 v7, v2, v8 :: v_dual_mov_b32 v8, v1
.LBB0_6:                                ;   in Loop: Header=BB0_2 Depth=1
	s_or_b32 exec_lo, exec_lo, s2
	s_load_b64 s[2:3], s[12:13], 0x0
	s_delay_alu instid0(VALU_DEP_1) | instskip(NEXT) | instid1(VALU_DEP_2)
	v_mul_lo_u32 v2, v8, s18
	v_mul_lo_u32 v11, v7, s19
	v_mad_u64_u32 v[9:10], null, v7, s18, 0
	s_add_u32 s16, s16, 1
	s_addc_u32 s17, s17, 0
	s_add_u32 s12, s12, 8
	s_addc_u32 s13, s13, 0
	;; [unrolled: 2-line block ×3, first 2 shown]
	s_delay_alu instid0(VALU_DEP_1) | instskip(SKIP_1) | instid1(VALU_DEP_2)
	v_add3_u32 v2, v10, v11, v2
	v_sub_co_u32 v9, vcc_lo, v5, v9
	v_sub_co_ci_u32_e32 v2, vcc_lo, v6, v2, vcc_lo
	s_waitcnt lgkmcnt(0)
	s_delay_alu instid0(VALU_DEP_2) | instskip(NEXT) | instid1(VALU_DEP_2)
	v_mul_lo_u32 v10, s3, v9
	v_mul_lo_u32 v2, s2, v2
	v_mad_u64_u32 v[5:6], null, s2, v9, v[3:4]
	v_cmp_ge_u64_e64 s2, s[16:17], s[6:7]
	s_delay_alu instid0(VALU_DEP_1) | instskip(NEXT) | instid1(VALU_DEP_2)
	s_and_b32 vcc_lo, exec_lo, s2
	v_add3_u32 v4, v10, v6, v2
	s_delay_alu instid0(VALU_DEP_3)
	v_mov_b32_e32 v3, v5
	s_cbranch_vccnz .LBB0_9
; %bb.7:                                ;   in Loop: Header=BB0_2 Depth=1
	v_dual_mov_b32 v5, v7 :: v_dual_mov_b32 v6, v8
	s_branch .LBB0_2
.LBB0_8:
	v_dual_mov_b32 v8, v6 :: v_dual_mov_b32 v7, v5
.LBB0_9:
	s_lshl_b64 s[2:3], s[6:7], 3
	v_mul_hi_u32 v1, 0x4444445, v0
	s_add_u32 s2, s10, s2
	s_addc_u32 s3, s11, s3
	s_load_b64 s[0:1], s[0:1], 0x20
	s_load_b64 s[2:3], s[2:3], 0x0
	s_delay_alu instid0(VALU_DEP_1) | instskip(NEXT) | instid1(VALU_DEP_1)
	v_mul_u32_u24_e32 v1, 60, v1
	v_sub_nc_u32_e32 v24, v0, v1
	s_delay_alu instid0(VALU_DEP_1)
	v_add_nc_u32_e32 v26, 60, v24
	v_add_nc_u32_e32 v33, 0x78, v24
	;; [unrolled: 1-line block ×3, first 2 shown]
	s_waitcnt lgkmcnt(0)
	v_cmp_gt_u64_e32 vcc_lo, s[0:1], v[7:8]
	v_mul_lo_u32 v2, s2, v8
	v_mul_lo_u32 v5, s3, v7
	v_mad_u64_u32 v[0:1], null, s2, v7, v[3:4]
	v_cmp_le_u64_e64 s0, s[0:1], v[7:8]
	s_delay_alu instid0(VALU_DEP_2) | instskip(NEXT) | instid1(VALU_DEP_2)
	v_add3_u32 v1, v5, v1, v2
	s_and_saveexec_b32 s1, s0
	s_delay_alu instid0(SALU_CYCLE_1)
	s_xor_b32 s0, exec_lo, s1
; %bb.10:
	v_add_nc_u32_e32 v26, 60, v24
	v_add_nc_u32_e32 v33, 0x78, v24
	;; [unrolled: 1-line block ×3, first 2 shown]
; %bb.11:
	s_or_saveexec_b32 s1, s0
	v_lshlrev_b64 v[30:31], 2, v[0:1]
	v_lshl_add_u32 v62, v24, 2, 0
	v_or_b32_e32 v28, 0x780, v24
	s_xor_b32 exec_lo, exec_lo, s1
	s_cbranch_execz .LBB0_13
; %bb.12:
	v_mov_b32_e32 v25, 0
	v_add_co_u32 v6, s0, s8, v30
	s_delay_alu instid0(VALU_DEP_1) | instskip(NEXT) | instid1(VALU_DEP_3)
	v_add_co_ci_u32_e64 v7, s0, s9, v31, s0
	v_lshlrev_b64 v[0:1], 2, v[24:25]
	v_dual_mov_b32 v29, v25 :: v_dual_add_nc_u32 v46, 0x800, v62
	v_add_nc_u32_e32 v47, 0xa00, v62
	v_add_nc_u32_e32 v48, 0xc00, v62
	;; [unrolled: 1-line block ×3, first 2 shown]
	v_add_co_u32 v0, s0, v6, v0
	s_delay_alu instid0(VALU_DEP_1) | instskip(SKIP_1) | instid1(VALU_DEP_3)
	v_add_co_ci_u32_e64 v1, s0, v7, v1, s0
	v_lshlrev_b64 v[4:5], 2, v[28:29]
	v_add_co_u32 v2, s0, 0x1000, v0
	s_delay_alu instid0(VALU_DEP_1)
	v_add_co_ci_u32_e64 v3, s0, 0, v1, s0
	s_clause 0x7
	global_load_b32 v8, v[0:1], off
	global_load_b32 v9, v[0:1], off offset:240
	global_load_b32 v10, v[0:1], off offset:480
	;; [unrolled: 1-line block ×7, first 2 shown]
	v_add_co_u32 v4, s0, v6, v4
	s_delay_alu instid0(VALU_DEP_1)
	v_add_co_ci_u32_e64 v5, s0, v7, v5, s0
	s_clause 0xf
	global_load_b32 v16, v[0:1], off offset:1920
	global_load_b32 v17, v[0:1], off offset:2160
	;; [unrolled: 1-line block ×16, first 2 shown]
	v_add_co_u32 v0, s0, 0x2000, v0
	s_delay_alu instid0(VALU_DEP_1)
	v_add_co_ci_u32_e64 v1, s0, 0, v1, s0
	s_clause 0xb
	global_load_b32 v6, v[2:3], off offset:1664
	global_load_b32 v7, v[2:3], off offset:1904
	;; [unrolled: 1-line block ×10, first 2 shown]
	global_load_b32 v1, v[4:5], off
	global_load_b32 v2, v[2:3], off offset:4064
	v_add_nc_u32_e32 v3, 0x200, v62
	v_add_nc_u32_e32 v4, 0x400, v62
	;; [unrolled: 1-line block ×7, first 2 shown]
	s_waitcnt vmcnt(34)
	ds_store_2addr_b32 v62, v8, v9 offset1:60
	s_waitcnt vmcnt(32)
	ds_store_2addr_b32 v62, v10, v11 offset0:120 offset1:180
	s_waitcnt vmcnt(30)
	ds_store_2addr_b32 v3, v12, v13 offset0:112 offset1:172
	;; [unrolled: 2-line block ×17, first 2 shown]
.LBB0_13:
	s_or_b32 exec_lo, exec_lo, s1
	v_add_nc_u32_e32 v66, 0xe00, v62
	v_add_nc_u32_e32 v25, 0x1400, v62
	;; [unrolled: 1-line block ×4, first 2 shown]
	s_waitcnt lgkmcnt(0)
	s_barrier
	buffer_gl0_inv
	ds_load_2addr_b32 v[0:1], v62 offset0:120 offset1:180
	ds_load_2addr_b32 v[6:7], v66 offset0:88 offset1:148
	;; [unrolled: 1-line block ×5, first 2 shown]
	v_add_nc_u32_e32 v67, 0x400, v62
	v_add_nc_u32_e32 v29, 0xc00, v62
	;; [unrolled: 1-line block ×5, first 2 shown]
	ds_load_2addr_b32 v[14:15], v67 offset0:80 offset1:140
	ds_load_2addr_b32 v[16:17], v29 offset1:60
	ds_load_2addr_b32 v[12:13], v68 offset0:176 offset1:236
	ds_load_2addr_b32 v[10:11], v63 offset0:96 offset1:156
	;; [unrolled: 1-line block ×3, first 2 shown]
	s_mov_b32 s1, exec_lo
	s_waitcnt lgkmcnt(9)
	v_lshrrev_b32_e32 v20, 16, v0
	s_waitcnt lgkmcnt(8)
	v_lshrrev_b32_e32 v34, 16, v6
	s_waitcnt lgkmcnt(7)
	v_add_f16_e32 v21, v6, v4
	s_waitcnt lgkmcnt(6)
	v_lshrrev_b32_e32 v22, 16, v18
	s_waitcnt lgkmcnt(5)
	v_lshrrev_b32_e32 v23, 16, v2
	v_lshrrev_b32_e32 v35, 16, v4
	v_sub_f16_e32 v36, v2, v4
	v_fma_f16 v21, -0.5, v21, v0
	v_sub_f16_e32 v38, v18, v6
	v_sub_f16_e32 v37, v22, v23
	v_add_f16_e32 v39, v18, v2
	v_sub_f16_e32 v41, v34, v35
	v_sub_f16_e32 v40, v4, v2
	;; [unrolled: 1-line block ×3, first 2 shown]
	v_fmamk_f16 v42, v37, 0xbb9c, v21
	v_fmac_f16_e32 v21, 0x3b9c, v37
	v_fma_f16 v44, -0.5, v39, v0
	v_add_f16_e32 v36, v38, v36
	v_add_f16_e32 v38, v34, v35
	v_fmac_f16_e32 v42, 0xb8b4, v41
	v_fmac_f16_e32 v21, 0x38b4, v41
	v_fmamk_f16 v46, v41, 0x3b9c, v44
	v_fmac_f16_e32 v44, 0xbb9c, v41
	v_fma_f16 v53, -0.5, v38, v20
	v_fmac_f16_e32 v42, 0x34f2, v36
	v_fmac_f16_e32 v21, 0x34f2, v36
	v_add_f16_e32 v36, v43, v40
	v_add_f16_e32 v43, v22, v23
	v_sub_f16_e32 v38, v18, v2
	v_fmac_f16_e32 v46, 0xb8b4, v37
	v_fmac_f16_e32 v44, 0x38b4, v37
	v_sub_f16_e32 v39, v6, v4
	v_sub_f16_e32 v40, v22, v34
	;; [unrolled: 1-line block ×3, first 2 shown]
	v_fmac_f16_e32 v20, -0.5, v43
	v_fmamk_f16 v37, v38, 0x3b9c, v53
	v_fmac_f16_e32 v46, 0x34f2, v36
	v_fmac_f16_e32 v44, 0x34f2, v36
	v_add_f16_e32 v36, v40, v41
	v_fmac_f16_e32 v53, 0xbb9c, v38
	s_waitcnt lgkmcnt(1)
	v_add_f16_e32 v40, v12, v10
	v_lshrrev_b32_e32 v41, 16, v16
	s_waitcnt lgkmcnt(0)
	v_lshrrev_b32_e32 v43, 16, v8
	v_fmamk_f16 v51, v39, 0xbb9c, v20
	v_lshrrev_b32_e32 v47, 16, v12
	v_lshrrev_b32_e32 v48, 16, v10
	v_sub_f16_e32 v22, v34, v22
	v_sub_f16_e32 v23, v35, v23
	;; [unrolled: 1-line block ×4, first 2 shown]
	v_add_f16_e32 v52, v16, v8
	v_fmac_f16_e32 v20, 0x3b9c, v39
	v_fmac_f16_e32 v37, 0x38b4, v39
	;; [unrolled: 1-line block ×3, first 2 shown]
	v_fma_f16 v45, -0.5, v40, v14
	v_sub_f16_e32 v40, v41, v43
	v_fmac_f16_e32 v51, 0x38b4, v38
	v_add_f16_e32 v22, v22, v23
	v_add_f16_e32 v23, v50, v49
	v_fma_f16 v49, -0.5, v52, v14
	v_fmac_f16_e32 v20, 0xb8b4, v38
	v_sub_f16_e32 v38, v10, v8
	v_sub_f16_e32 v39, v12, v16
	v_add_f16_e32 v50, v47, v48
	v_lshrrev_b32_e32 v52, 16, v14
	v_fmamk_f16 v34, v40, 0xbb9c, v45
	v_sub_f16_e32 v35, v47, v48
	v_fmac_f16_e32 v45, 0x3b9c, v40
	v_add_f16_e32 v38, v39, v38
	v_add_f16_e32 v39, v41, v43
	v_fma_f16 v50, -0.5, v50, v52
	v_sub_f16_e32 v54, v16, v8
	v_fmac_f16_e32 v37, 0x34f2, v36
	v_fmac_f16_e32 v34, 0xb8b4, v35
	;; [unrolled: 1-line block ×3, first 2 shown]
	v_fmamk_f16 v36, v35, 0x3b9c, v49
	v_fmac_f16_e32 v45, 0x38b4, v35
	v_sub_f16_e32 v55, v12, v10
	v_fmac_f16_e32 v52, -0.5, v39
	v_fmac_f16_e32 v49, 0xbb9c, v35
	v_fmamk_f16 v35, v54, 0x3b9c, v50
	v_sub_f16_e32 v39, v41, v47
	v_sub_f16_e32 v56, v43, v48
	v_fmamk_f16 v57, v55, 0xbb9c, v52
	v_sub_f16_e32 v41, v47, v41
	v_sub_f16_e32 v43, v48, v43
	v_fmac_f16_e32 v35, 0x38b4, v55
	v_add_f16_e32 v39, v39, v56
	v_fmac_f16_e32 v57, 0x38b4, v54
	v_fmac_f16_e32 v34, 0x34f2, v23
	v_add_f16_e32 v41, v41, v43
	v_fmac_f16_e32 v52, 0x3b9c, v55
	v_fmac_f16_e32 v35, 0x34f2, v39
	;; [unrolled: 1-line block ×6, first 2 shown]
	v_mul_f16_e32 v43, 0xb8b4, v35
	v_fmac_f16_e32 v50, 0xb8b4, v55
	v_fmac_f16_e32 v20, 0x34f2, v22
	v_mul_f16_e32 v48, 0xbb9c, v57
	v_mul_f16_e32 v22, 0x38b4, v34
	v_fmac_f16_e32 v43, 0x3a79, v34
	v_mul_f16_e32 v34, 0x34f2, v57
	ds_load_2addr_b32 v[54:55], v29 offset0:96 offset1:156
	ds_load_2addr_b32 v[56:57], v25 offset0:16 offset1:76
	;; [unrolled: 1-line block ×4, first 2 shown]
	v_fmac_f16_e32 v49, 0x38b4, v40
	v_fmac_f16_e32 v52, 0x34f2, v41
	;; [unrolled: 1-line block ×3, first 2 shown]
	ds_load_2addr_b32 v[70:71], v62 offset1:60
	v_fmac_f16_e32 v36, 0xb8b4, v40
	v_fmac_f16_e32 v49, 0x34f2, v38
	v_mul_f16_e32 v64, 0xbb9c, v52
	v_fmac_f16_e32 v45, 0x34f2, v23
	v_mul_f16_e32 v23, 0xb8b4, v50
	;; [unrolled: 2-line block ×3, first 2 shown]
	v_fmac_f16_e32 v64, 0xb4f2, v49
	v_add_f16_e32 v39, v42, v43
	v_fmac_f16_e32 v23, 0xba79, v45
	v_fmac_f16_e32 v48, 0x34f2, v36
	v_mul_f16_e32 v72, 0xba79, v50
	v_add_f16_e32 v40, v44, v64
	v_fmac_f16_e32 v22, 0x3a79, v35
	v_fmac_f16_e32 v34, 0x3b9c, v36
	;; [unrolled: 1-line block ×3, first 2 shown]
	v_add_f16_e32 v41, v21, v23
	v_sub_f16_e32 v43, v42, v43
	v_sub_f16_e32 v42, v44, v64
	;; [unrolled: 1-line block ×3, first 2 shown]
	s_waitcnt lgkmcnt(3)
	v_add_f16_e32 v21, v55, v57
	s_waitcnt lgkmcnt(2)
	v_lshrrev_b32_e32 v74, 16, v59
	s_waitcnt lgkmcnt(1)
	v_lshrrev_b32_e32 v75, 16, v61
	v_add_f16_e32 v38, v46, v48
	v_fmac_f16_e32 v72, 0x38b4, v45
	v_add_f16_e32 v49, v37, v22
	v_add_f16_e32 v47, v51, v34
	;; [unrolled: 1-line block ×3, first 2 shown]
	v_sub_f16_e32 v46, v46, v48
	v_sub_f16_e32 v48, v37, v22
	;; [unrolled: 1-line block ×4, first 2 shown]
	v_add_nc_u32_e32 v64, 0x200, v62
	s_waitcnt lgkmcnt(0)
	v_fma_f16 v76, -0.5, v21, v71
	v_sub_f16_e32 v77, v74, v75
	v_lshrrev_b32_e32 v78, 16, v55
	v_lshrrev_b32_e32 v79, 16, v57
	v_sub_f16_e32 v36, v61, v57
	v_sub_f16_e32 v37, v59, v55
	v_add_nc_u32_e32 v69, 0x1600, v62
	v_add_f16_e32 v45, v53, v72
	v_sub_f16_e32 v53, v53, v72
	ds_load_2addr_b32 v[20:21], v64 offset0:88 offset1:148
	ds_load_2addr_b32 v[22:23], v27 offset0:136 offset1:196
	v_fmamk_f16 v80, v77, 0xbb9c, v76
	v_sub_f16_e32 v81, v78, v79
	ds_load_2addr_b32 v[34:35], v68 offset0:56 offset1:116
	v_add_f16_e32 v82, v59, v61
	v_add_f16_e32 v83, v37, v36
	ds_load_2addr_b32 v[36:37], v69 offset0:104 offset1:164
	ds_load_2addr_b32 v[72:73], v65 offset0:152 offset1:212
	v_fmac_f16_e32 v76, 0x3b9c, v77
	v_add_f16_e32 v84, v78, v79
	v_lshrrev_b32_e32 v85, 16, v71
	v_fmac_f16_e32 v80, 0xb8b4, v81
	v_fma_f16 v82, -0.5, v82, v71
	v_fmac_f16_e32 v76, 0x38b4, v81
	v_sub_f16_e32 v87, v57, v61
	v_sub_f16_e32 v88, v55, v59
	v_fma_f16 v84, -0.5, v84, v85
	v_sub_f16_e32 v89, v59, v61
	v_fmac_f16_e32 v80, 0x34f2, v83
	v_fmamk_f16 v86, v81, 0x3b9c, v82
	v_fmac_f16_e32 v76, 0x34f2, v83
	v_add_f16_e32 v83, v88, v87
	v_fmac_f16_e32 v82, 0xbb9c, v81
	v_fmamk_f16 v81, v89, 0x3b9c, v84
	v_sub_f16_e32 v88, v55, v57
	v_sub_f16_e32 v90, v74, v78
	;; [unrolled: 1-line block ×3, first 2 shown]
	v_fmac_f16_e32 v84, 0xbb9c, v89
	v_fmac_f16_e32 v86, 0xb8b4, v77
	v_add_f16_e32 v87, v74, v75
	v_fmac_f16_e32 v82, 0x38b4, v77
	v_fmac_f16_e32 v81, 0x38b4, v88
	v_add_f16_e32 v77, v90, v91
	v_fmac_f16_e32 v84, 0xb8b4, v88
	v_fmac_f16_e32 v85, -0.5, v87
	v_fmac_f16_e32 v86, 0x34f2, v83
	v_fmac_f16_e32 v82, 0x34f2, v83
	;; [unrolled: 1-line block ×4, first 2 shown]
	s_waitcnt lgkmcnt(1)
	v_add_f16_e32 v77, v35, v37
	v_lshrrev_b32_e32 v83, 16, v23
	s_waitcnt lgkmcnt(0)
	v_lshrrev_b32_e32 v90, 16, v73
	v_fmamk_f16 v87, v88, 0xbb9c, v85
	v_sub_f16_e32 v74, v78, v74
	v_sub_f16_e32 v75, v79, v75
	v_fmac_f16_e32 v85, 0x3b9c, v88
	v_fma_f16 v77, -0.5, v77, v21
	v_sub_f16_e32 v78, v83, v90
	v_lshrrev_b32_e32 v79, 16, v35
	v_lshrrev_b32_e32 v88, 16, v37
	v_sub_f16_e32 v91, v73, v37
	v_sub_f16_e32 v92, v23, v35
	v_add_f16_e32 v93, v23, v73
	v_fmac_f16_e32 v87, 0x38b4, v89
	v_add_f16_e32 v74, v74, v75
	v_fmamk_f16 v75, v78, 0xbb9c, v77
	v_sub_f16_e32 v94, v79, v88
	v_fmac_f16_e32 v77, 0x3b9c, v78
	v_fmac_f16_e32 v85, 0xb8b4, v89
	v_add_f16_e32 v89, v92, v91
	v_fma_f16 v91, -0.5, v93, v21
	v_fmac_f16_e32 v75, 0xb8b4, v94
	v_fmac_f16_e32 v77, 0x38b4, v94
	;; [unrolled: 1-line block ×4, first 2 shown]
	v_fmamk_f16 v74, v94, 0x3b9c, v91
	v_sub_f16_e32 v92, v37, v73
	v_sub_f16_e32 v93, v35, v23
	v_fmac_f16_e32 v91, 0xbb9c, v94
	v_fmac_f16_e32 v75, 0x34f2, v89
	;; [unrolled: 1-line block ×4, first 2 shown]
	v_add_f16_e32 v89, v93, v92
	v_fmac_f16_e32 v91, 0x38b4, v78
	v_add_f16_e32 v78, v79, v88
	v_lshrrev_b32_e32 v92, 16, v21
	v_add_f16_e32 v95, v83, v90
	v_sub_f16_e32 v93, v83, v79
	v_sub_f16_e32 v94, v90, v88
	;; [unrolled: 1-line block ×3, first 2 shown]
	v_fma_f16 v78, -0.5, v78, v92
	v_fmac_f16_e32 v92, -0.5, v95
	v_sub_f16_e32 v79, v79, v83
	v_sub_f16_e32 v83, v35, v37
	v_fmac_f16_e32 v74, 0x34f2, v89
	v_fmac_f16_e32 v91, 0x34f2, v89
	v_fmamk_f16 v89, v96, 0x3b9c, v78
	v_sub_f16_e32 v88, v88, v90
	v_add_f16_e32 v90, v93, v94
	v_fmamk_f16 v93, v83, 0xbb9c, v92
	v_pk_add_f16 v59, v71, v59
	v_fmac_f16_e32 v78, 0xbb9c, v96
	v_fmac_f16_e32 v89, 0x38b4, v83
	v_add_f16_e32 v79, v79, v88
	v_fmac_f16_e32 v92, 0x3b9c, v83
	v_fmac_f16_e32 v93, 0x38b4, v96
	v_pk_add_f16 v55, v59, v55
	v_fmac_f16_e32 v78, 0xb8b4, v83
	v_fmac_f16_e32 v89, 0x34f2, v90
	;; [unrolled: 1-line block ×4, first 2 shown]
	v_pk_add_f16 v55, v55, v57
	v_fmac_f16_e32 v78, 0x34f2, v90
	v_mul_f16_e32 v59, 0xb8b4, v89
	v_fmac_f16_e32 v92, 0x34f2, v79
	v_mul_f16_e32 v57, 0xbb9c, v93
	v_pk_add_f16 v55, v55, v61
	v_mul_f16_e32 v61, 0x34f2, v93
	v_mul_f16_e32 v71, 0x38b4, v75
	v_fmac_f16_e32 v59, 0x3a79, v75
	v_fmac_f16_e32 v57, 0x34f2, v74
	v_mul_f16_e32 v75, 0xbb9c, v92
	v_mul_f16_e32 v79, 0xb4f2, v92
	v_fmac_f16_e32 v61, 0x3b9c, v74
	v_mul_f16_e32 v74, 0xb8b4, v78
	v_fmac_f16_e32 v71, 0x3a79, v89
	;; [unrolled: 2-line block ×3, first 2 shown]
	v_fmac_f16_e32 v79, 0x3b9c, v91
	v_add_f16_e32 v83, v80, v59
	v_fmac_f16_e32 v74, 0xba79, v77
	v_sub_f16_e32 v59, v80, v59
	v_pk_add_f16 v80, v70, v58
	v_fmac_f16_e32 v78, 0x38b4, v77
	v_add_f16_e32 v77, v86, v57
	v_sub_f16_e32 v57, v86, v57
	v_add_f16_e32 v86, v82, v75
	v_sub_f16_e32 v75, v82, v75
	v_add_f16_e32 v82, v76, v74
	v_pk_add_f16 v80, v80, v54
	v_sub_f16_e32 v74, v76, v74
	v_add_f16_e32 v76, v81, v71
	v_sub_f16_e32 v71, v81, v71
	v_add_f16_e32 v81, v87, v61
	;; [unrolled: 2-line block ×3, first 2 shown]
	v_sub_f16_e32 v79, v85, v79
	v_lshrrev_b32_e32 v85, 16, v60
	v_add_f16_e32 v91, v54, v56
	v_lshrrev_b32_e32 v92, 16, v58
	v_pk_add_f16 v80, v80, v56
	v_add_f16_e32 v89, v58, v60
	v_lshrrev_b32_e32 v94, 16, v54
	v_lshrrev_b32_e32 v95, 16, v56
	v_fma_f16 v91, -0.5, v91, v70
	v_sub_f16_e32 v96, v92, v85
	v_pk_add_f16 v80, v80, v60
	v_sub_f16_e32 v88, v60, v56
	v_sub_f16_e32 v90, v56, v60
	;; [unrolled: 1-line block ×5, first 2 shown]
	v_fma_f16 v89, -0.5, v89, v70
	v_sub_f16_e32 v97, v94, v95
	v_sub_f16_e32 v54, v54, v56
	v_fmamk_f16 v56, v96, 0xbb9c, v91
	v_fmac_f16_e32 v91, 0x3b9c, v96
	v_add_f16_e32 v88, v93, v88
	v_fmamk_f16 v93, v97, 0x3b9c, v89
	v_fmac_f16_e32 v89, 0xbb9c, v97
	v_fmac_f16_e32 v56, 0xb8b4, v97
	;; [unrolled: 1-line block ×3, first 2 shown]
	v_add_f16_e32 v58, v58, v90
	v_lshrrev_b32_e32 v70, 16, v70
	v_add_f16_e32 v90, v94, v95
	v_add_f16_e32 v97, v92, v85
	v_fmac_f16_e32 v93, 0xb8b4, v96
	v_fmac_f16_e32 v89, 0x38b4, v96
	v_add_f16_e32 v96, v84, v78
	v_sub_f16_e32 v78, v84, v78
	v_fmac_f16_e32 v56, 0x34f2, v88
	v_fmac_f16_e32 v91, 0x34f2, v88
	v_fma_f16 v84, -0.5, v90, v70
	v_sub_f16_e32 v88, v92, v94
	v_sub_f16_e32 v90, v85, v95
	v_fmac_f16_e32 v70, -0.5, v97
	v_pk_add_f16 v21, v21, v23
	v_fmac_f16_e32 v93, 0x34f2, v58
	v_fmamk_f16 v98, v60, 0x3b9c, v84
	v_fmac_f16_e32 v89, 0x34f2, v58
	v_add_f16_e32 v58, v88, v90
	v_fmac_f16_e32 v84, 0xbb9c, v60
	v_sub_f16_e32 v88, v94, v92
	v_sub_f16_e32 v23, v95, v85
	v_pk_add_f16 v85, v20, v22
	v_pk_add_f16 v21, v21, v35
	v_fmamk_f16 v35, v54, 0xbb9c, v70
	v_fmac_f16_e32 v70, 0x3b9c, v54
	v_fmac_f16_e32 v98, 0x38b4, v54
	;; [unrolled: 1-line block ×3, first 2 shown]
	v_add_f16_e32 v23, v88, v23
	v_pk_add_f16 v54, v85, v34
	v_fmac_f16_e32 v35, 0x38b4, v60
	v_fmac_f16_e32 v70, 0xb8b4, v60
	;; [unrolled: 1-line block ×3, first 2 shown]
	v_pk_add_f16 v21, v21, v37
	v_fmac_f16_e32 v84, 0x34f2, v58
	v_pk_add_f16 v37, v54, v36
	v_fmac_f16_e32 v35, 0x34f2, v23
	v_fmac_f16_e32 v70, 0x34f2, v23
	v_lshrrev_b32_e32 v23, 16, v72
	v_add_f16_e32 v54, v34, v36
	v_lshrrev_b32_e32 v58, 16, v22
	v_lshrrev_b32_e32 v85, 16, v34
	v_lshrrev_b32_e32 v90, 16, v36
	v_pk_add_f16 v21, v21, v73
	v_fma_f16 v54, -0.5, v54, v20
	v_sub_f16_e32 v88, v58, v23
	v_sub_f16_e32 v60, v72, v36
	v_add_f16_e32 v73, v22, v72
	v_sub_f16_e32 v94, v22, v34
	v_sub_f16_e32 v97, v85, v90
	v_fmamk_f16 v95, v88, 0xbb9c, v54
	v_fmac_f16_e32 v54, 0x3b9c, v88
	v_fma_f16 v73, -0.5, v73, v20
	v_add_f16_e32 v60, v94, v60
	v_pk_add_f16 v37, v37, v72
	v_fmac_f16_e32 v95, 0xb8b4, v97
	v_fmac_f16_e32 v54, 0x38b4, v97
	v_sub_f16_e32 v92, v36, v72
	v_sub_f16_e32 v72, v22, v72
	;; [unrolled: 1-line block ×4, first 2 shown]
	v_fmamk_f16 v36, v97, 0x3b9c, v73
	v_fmac_f16_e32 v73, 0xbb9c, v97
	v_fmac_f16_e32 v95, 0x34f2, v60
	v_fmac_f16_e32 v54, 0x34f2, v60
	v_lshrrev_b32_e32 v20, 16, v20
	v_add_f16_e32 v60, v85, v90
	v_add_f16_e32 v97, v58, v23
	;; [unrolled: 1-line block ×3, first 2 shown]
	v_sub_f16_e32 v92, v58, v85
	v_sub_f16_e32 v94, v23, v90
	v_fma_f16 v60, -0.5, v60, v20
	v_fmac_f16_e32 v20, -0.5, v97
	v_sub_f16_e32 v58, v85, v58
	v_sub_f16_e32 v23, v90, v23
	v_fmac_f16_e32 v36, 0xb8b4, v88
	v_fmac_f16_e32 v73, 0x38b4, v88
	v_fmamk_f16 v85, v34, 0xbb9c, v20
	v_add_f16_e32 v88, v92, v94
	v_fmamk_f16 v92, v72, 0x3b9c, v60
	v_fmac_f16_e32 v20, 0x3b9c, v34
	v_fmac_f16_e32 v60, 0xbb9c, v72
	v_add_f16_e32 v23, v58, v23
	v_fmac_f16_e32 v85, 0x38b4, v72
	v_fmac_f16_e32 v92, 0x38b4, v34
	;; [unrolled: 1-line block ×9, first 2 shown]
	v_pk_add_f16 v0, v0, v18
	v_mul_f16_e32 v18, 0xbb9c, v85
	v_mul_f16_e32 v34, 0x34f2, v85
	v_fmac_f16_e32 v73, 0x34f2, v22
	v_mul_f16_e32 v22, 0xb8b4, v92
	v_mul_f16_e32 v23, 0x38b4, v95
	;; [unrolled: 1-line block ×4, first 2 shown]
	v_pk_add_f16 v14, v14, v16
	v_fmac_f16_e32 v18, 0x34f2, v36
	v_fmac_f16_e32 v34, 0x3b9c, v36
	v_mul_f16_e32 v16, 0xb8b4, v60
	v_mul_f16_e32 v36, 0xba79, v60
	v_fmac_f16_e32 v22, 0x3a79, v95
	v_fmac_f16_e32 v23, 0x3a79, v92
	;; [unrolled: 1-line block ×4, first 2 shown]
	v_pk_add_f16 v0, v0, v6
	v_pk_add_f16 v6, v14, v12
	v_fmac_f16_e32 v16, 0xba79, v54
	v_fmac_f16_e32 v36, 0x38b4, v54
	v_add_f16_e32 v12, v56, v22
	v_add_f16_e32 v54, v89, v58
	;; [unrolled: 1-line block ×4, first 2 shown]
	v_sub_f16_e32 v34, v35, v34
	v_add_f16_e32 v35, v70, v20
	v_mul_u32_u24_e32 v73, 10, v24
	v_pk_add_f16 v0, v0, v4
	v_pk_add_f16 v4, v6, v10
	v_mul_i32_i24_e32 v10, 10, v33
	v_sub_f16_e32 v14, v56, v22
	v_add_f16_e32 v22, v93, v18
	v_sub_f16_e32 v56, v89, v58
	v_add_f16_e32 v58, v91, v16
	;; [unrolled: 2-line block ×3, first 2 shown]
	v_sub_f16_e32 v18, v93, v18
	v_sub_f16_e32 v23, v98, v23
	;; [unrolled: 1-line block ×4, first 2 shown]
	v_pack_b32_f16 v12, v12, v60
	v_mul_i32_i24_e32 v60, 10, v26
	v_pack_b32_f16 v6, v54, v35
	v_lshl_add_u32 v35, v73, 2, 0
	v_pk_add_f16 v0, v0, v2
	v_pk_add_f16 v2, v4, v8
	v_lshl_add_u32 v4, v10, 2, 0
	v_pk_add_f16 v10, v80, v37
	v_pack_b32_f16 v8, v22, v72
	v_pk_add_f16 v22, v80, v37 neg_lo:[0,1] neg_hi:[0,1]
	v_pack_b32_f16 v58, v58, v70
	v_pack_b32_f16 v18, v18, v34
	;; [unrolled: 1-line block ×5, first 2 shown]
	v_lshl_add_u32 v54, v60, 2, 0
	v_pk_add_f16 v60, v55, v21
	s_barrier
	buffer_gl0_inv
	ds_store_2addr_b32 v35, v10, v12 offset1:1
	ds_store_2addr_b32 v35, v8, v6 offset0:2 offset1:3
	ds_store_2addr_b32 v35, v58, v22 offset0:4 offset1:5
	;; [unrolled: 1-line block ×4, first 2 shown]
	v_pack_b32_f16 v6, v83, v76
	v_pack_b32_f16 v8, v86, v87
	;; [unrolled: 1-line block ×3, first 2 shown]
	v_pk_add_f16 v12, v55, v21 neg_lo:[0,1] neg_hi:[0,1]
	v_pack_b32_f16 v14, v82, v96
	v_pack_b32_f16 v16, v57, v61
	;; [unrolled: 1-line block ×5, first 2 shown]
	v_pk_add_f16 v37, v0, v2
	ds_store_2addr_b32 v54, v60, v6 offset1:1
	ds_store_2addr_b32 v54, v10, v8 offset0:2 offset1:3
	ds_store_2addr_b32 v54, v14, v12 offset0:4 offset1:5
	;; [unrolled: 1-line block ×4, first 2 shown]
	v_pack_b32_f16 v6, v39, v49
	v_pack_b32_f16 v8, v40, v50
	;; [unrolled: 1-line block ×3, first 2 shown]
	v_pk_add_f16 v0, v0, v2 neg_lo:[0,1] neg_hi:[0,1]
	v_pack_b32_f16 v2, v41, v45
	v_pack_b32_f16 v12, v46, v52
	;; [unrolled: 1-line block ×5, first 2 shown]
	ds_store_2addr_b32 v4, v37, v6 offset1:1
	ds_store_2addr_b32 v4, v10, v8 offset0:2 offset1:3
	ds_store_2addr_b32 v4, v2, v0 offset0:4 offset1:5
	ds_store_2addr_b32 v4, v14, v12 offset0:6 offset1:7
	ds_store_2addr_b32 v4, v18, v16 offset0:8 offset1:9
	v_cmpx_gt_u32_e32 36, v24
	s_cbranch_execz .LBB0_15
; %bb.14:
	v_lshrrev_b32_e32 v0, 16, v7
	v_lshrrev_b32_e32 v2, 16, v5
	;; [unrolled: 1-line block ×4, first 2 shown]
	v_sub_f16_e32 v36, v9, v11
	v_sub_f16_e32 v43, v17, v13
	v_lshrrev_b32_e32 v8, 16, v1
	v_add_f16_e32 v10, v0, v2
	v_lshrrev_b32_e32 v12, 16, v13
	v_lshrrev_b32_e32 v14, 16, v11
	v_add_f16_e32 v36, v43, v36
	v_add_f16_e32 v43, v4, v6
	v_fma_f16 v10, -0.5, v10, v8
	v_lshrrev_b32_e32 v34, 16, v17
	v_lshrrev_b32_e32 v35, 16, v9
	v_sub_f16_e32 v45, v12, v14
	v_fmac_f16_e32 v8, -0.5, v43
	v_add_f16_e32 v43, v17, v9
	v_add_f16_e32 v21, v12, v14
	v_sub_f16_e32 v38, v34, v35
	v_sub_f16_e32 v40, v35, v14
	v_add_f16_e32 v47, v34, v35
	v_fma_f16 v43, -0.5, v43, v15
	v_sub_f16_e32 v14, v14, v35
	v_sub_f16_e32 v35, v11, v9
	;; [unrolled: 1-line block ×4, first 2 shown]
	v_fmamk_f16 v51, v45, 0xbb9c, v43
	v_fmac_f16_e32 v43, 0x3b9c, v45
	v_sub_f16_e32 v39, v34, v12
	v_add_f16_e32 v35, v50, v35
	v_lshrrev_b32_e32 v22, 16, v15
	v_fmac_f16_e32 v51, 0x38b4, v38
	v_fmac_f16_e32 v43, 0xb8b4, v38
	v_sub_f16_e32 v16, v4, v0
	v_sub_f16_e32 v18, v6, v2
	v_add_f16_e32 v23, v13, v11
	v_add_f16_e32 v39, v39, v40
	v_fmamk_f16 v40, v20, 0xbb9c, v10
	v_sub_f16_e32 v46, v7, v5
	v_fmac_f16_e32 v51, 0x34f2, v35
	v_fmac_f16_e32 v43, 0x34f2, v35
	;; [unrolled: 1-line block ×3, first 2 shown]
	v_add_f16_e32 v35, v7, v5
	v_fma_f16 v21, -0.5, v21, v22
	v_sub_f16_e32 v42, v13, v11
	v_fmac_f16_e32 v22, -0.5, v47
	v_sub_f16_e32 v37, v17, v9
	v_fma_f16 v23, -0.5, v23, v15
	v_add_f16_e32 v16, v16, v18
	v_fmac_f16_e32 v40, 0xb8b4, v46
	v_sub_f16_e32 v48, v0, v4
	v_fmac_f16_e32 v10, 0x38b4, v46
	v_fma_f16 v35, -0.5, v35, v1
	v_sub_f16_e32 v4, v4, v6
	v_sub_f16_e32 v12, v12, v34
	v_fmamk_f16 v34, v42, 0x3b9c, v22
	v_fmac_f16_e32 v22, 0xbb9c, v42
	v_fmamk_f16 v41, v37, 0xbb9c, v21
	v_fmamk_f16 v44, v38, 0x3b9c, v23
	v_fmac_f16_e32 v40, 0x34f2, v16
	v_sub_f16_e32 v49, v2, v6
	v_fmac_f16_e32 v23, 0xbb9c, v38
	v_fmac_f16_e32 v21, 0x3b9c, v37
	;; [unrolled: 1-line block ×3, first 2 shown]
	v_sub_f16_e32 v16, v3, v5
	v_sub_f16_e32 v6, v19, v7
	;; [unrolled: 1-line block ×3, first 2 shown]
	v_fmamk_f16 v2, v4, 0x3b9c, v35
	v_fmac_f16_e32 v35, 0xbb9c, v4
	v_fmac_f16_e32 v34, 0xb8b4, v37
	;; [unrolled: 1-line block ×3, first 2 shown]
	v_add_f16_e32 v37, v19, v3
	v_fmamk_f16 v47, v46, 0x3b9c, v8
	v_fmac_f16_e32 v8, 0xbb9c, v46
	v_fmac_f16_e32 v23, 0xb8b4, v45
	;; [unrolled: 1-line block ×3, first 2 shown]
	v_add_f16_e32 v6, v6, v16
	v_fmac_f16_e32 v2, 0x38b4, v0
	v_fmac_f16_e32 v35, 0xb8b4, v0
	v_fmac_f16_e32 v41, 0xb8b4, v42
	v_add_f16_e32 v12, v12, v14
	v_pk_add_f16 v38, v1, v19
	v_fmac_f16_e32 v1, -0.5, v37
	v_add_f16_e32 v14, v48, v49
	v_fmac_f16_e32 v47, 0xb8b4, v20
	v_fmac_f16_e32 v8, 0x38b4, v20
	;; [unrolled: 1-line block ×6, first 2 shown]
	v_pk_add_f16 v6, v15, v17
	v_fmac_f16_e32 v44, 0x38b4, v45
	v_fmac_f16_e32 v41, 0x34f2, v39
	;; [unrolled: 1-line block ×4, first 2 shown]
	v_sub_f16_e32 v16, v5, v3
	v_sub_f16_e32 v19, v7, v19
	v_fmamk_f16 v37, v0, 0xbb9c, v1
	v_fmac_f16_e32 v1, 0x3b9c, v0
	v_fmac_f16_e32 v47, 0x34f2, v14
	v_fmac_f16_e32 v8, 0x34f2, v14
	v_mul_f16_e32 v14, 0x38b4, v23
	v_mul_f16_e32 v0, 0xb8b4, v21
	v_pk_add_f16 v7, v38, v7
	v_pk_add_f16 v6, v6, v13
	v_fmac_f16_e32 v44, 0x34f2, v36
	v_mul_f16_e32 v18, 0xba79, v41
	v_mul_f16_e32 v49, 0xb4f2, v34
	;; [unrolled: 1-line block ×3, first 2 shown]
	v_add_f16_e32 v16, v19, v16
	v_fmac_f16_e32 v37, 0x38b4, v4
	v_mul_f16_e32 v19, 0xbb9c, v34
	v_fmac_f16_e32 v1, 0xb8b4, v4
	v_mul_f16_e32 v4, 0xbb9c, v22
	v_mul_f16_e32 v41, 0xb8b4, v41
	v_fmac_f16_e32 v14, 0x3a79, v21
	v_fmac_f16_e32 v0, 0x3a79, v23
	v_pk_add_f16 v5, v7, v5
	v_pk_add_f16 v6, v6, v11
	v_fmac_f16_e32 v18, 0x38b4, v44
	v_fmac_f16_e32 v49, 0x3b9c, v51
	;; [unrolled: 1-line block ×8, first 2 shown]
	v_sub_f16_e32 v39, v10, v14
	v_sub_f16_e32 v21, v35, v0
	v_add_f16_e32 v7, v10, v14
	v_mul_i32_i24_e32 v10, 10, v32
	v_pk_add_f16 v3, v5, v3
	v_pk_add_f16 v5, v6, v9
	v_add_f16_e32 v0, v35, v0
	v_sub_f16_e32 v48, v40, v18
	v_sub_f16_e32 v36, v8, v12
	;; [unrolled: 1-line block ×3, first 2 shown]
	v_add_f16_e32 v13, v40, v18
	v_add_f16_e32 v18, v47, v49
	;; [unrolled: 1-line block ×5, first 2 shown]
	v_sub_f16_e32 v15, v2, v41
	v_add_f16_e32 v2, v2, v41
	v_sub_f16_e32 v20, v47, v49
	v_sub_f16_e32 v16, v37, v19
	v_lshl_add_u32 v4, v10, 2, 0
	v_pk_add_f16 v9, v3, v5
	v_pack_b32_f16 v0, v0, v7
	v_pack_b32_f16 v6, v6, v18
	;; [unrolled: 1-line block ×3, first 2 shown]
	v_pk_add_f16 v3, v3, v5 neg_lo:[0,1] neg_hi:[0,1]
	v_pack_b32_f16 v2, v2, v13
	v_pack_b32_f16 v5, v17, v36
	;; [unrolled: 1-line block ×5, first 2 shown]
	ds_store_2addr_b32 v4, v9, v0 offset1:1
	ds_store_2addr_b32 v4, v1, v6 offset0:2 offset1:3
	ds_store_2addr_b32 v4, v2, v3 offset0:4 offset1:5
	;; [unrolled: 1-line block ×4, first 2 shown]
.LBB0_15:
	s_or_b32 exec_lo, exec_lo, s1
	v_and_b32_e32 v0, 0xff, v26
	v_and_b32_e32 v78, 0xff, v33
	;; [unrolled: 1-line block ×3, first 2 shown]
	s_waitcnt lgkmcnt(0)
	s_barrier
	v_mul_lo_u16 v0, 0xcd, v0
	v_mul_lo_u16 v1, 0xcd, v78
	;; [unrolled: 1-line block ×3, first 2 shown]
	buffer_gl0_inv
	v_and_b32_e32 v11, 0xff, v24
	v_lshrrev_b16 v83, 11, v0
	v_lshrrev_b16 v84, 11, v1
	;; [unrolled: 1-line block ×3, first 2 shown]
	v_add_nc_u32_e32 v73, 0xf0, v24
	v_mul_lo_u16 v11, 0xcd, v11
	v_mul_lo_u16 v0, v83, 10
	;; [unrolled: 1-line block ×4, first 2 shown]
	v_and_b32_e32 v80, 0xffff, v73
	v_lshrrev_b16 v91, 11, v11
	v_sub_nc_u16 v0, v26, v0
	v_sub_nc_u16 v4, v33, v1
	;; [unrolled: 1-line block ×3, first 2 shown]
	v_mul_u32_u24_e32 v16, 0xcccd, v80
	v_mul_lo_u16 v11, v91, 10
	v_and_b32_e32 v86, 0xff, v0
	v_and_b32_e32 v85, 0xff, v4
	;; [unrolled: 1-line block ×3, first 2 shown]
	v_lshrrev_b32_e32 v89, 19, v16
	v_sub_nc_u16 v11, v24, v11
	v_mul_u32_u24_e32 v0, 5, v86
	v_mul_u32_u24_e32 v4, 5, v85
	;; [unrolled: 1-line block ×3, first 2 shown]
	v_add_nc_u32_e32 v76, 0x12c, v24
	v_and_b32_e32 v92, 0xff, v11
	v_lshlrev_b32_e32 v8, 2, v0
	v_lshlrev_b32_e32 v9, 2, v4
	;; [unrolled: 1-line block ×3, first 2 shown]
	v_mul_lo_u16 v16, v89, 10
	v_mul_u32_u24_e32 v11, 5, v92
	s_clause 0x4
	global_load_b128 v[0:3], v8, s[4:5]
	global_load_b32 v97, v8, s[4:5] offset:16
	global_load_b128 v[4:7], v9, s[4:5]
	global_load_b32 v96, v9, s[4:5] offset:16
	global_load_b128 v[20:23], v10, s[4:5]
	v_and_b32_e32 v79, 0xffff, v76
	v_lshlrev_b32_e32 v11, 2, v11
	v_sub_nc_u16 v16, v73, v16
	v_add_nc_u32_e32 v74, 0x1200, v62
	v_add_nc_u32_e32 v75, 0x1a00, v62
	v_mul_u32_u24_e32 v17, 0xcccd, v79
	global_load_b128 v[12:15], v11, s[4:5]
	v_and_b32_e32 v90, 0xffff, v16
	s_clause 0x1
	global_load_b32 v95, v10, s[4:5] offset:16
	global_load_b32 v93, v11, s[4:5] offset:16
	v_lshl_add_u32 v70, v26, 2, 0
	v_lshrrev_b32_e32 v81, 19, v17
	v_lshl_add_u32 v71, v33, 2, 0
	v_mul_u32_u24_e32 v8, 5, v90
	v_lshl_add_u32 v72, v32, 2, 0
	v_and_b32_e32 v91, 0xffff, v91
	v_mul_lo_u16 v9, v81, 10
	s_add_u32 s1, s4, 0x2198
	v_lshlrev_b32_e32 v8, 2, v8
	s_addc_u32 s2, s5, 0
	s_mov_b32 s3, exec_lo
	v_sub_nc_u16 v9, v76, v9
	global_load_b128 v[16:19], v8, s[4:5]
	v_and_b32_e32 v82, 0xffff, v9
	s_delay_alu instid0(VALU_DEP_1) | instskip(NEXT) | instid1(VALU_DEP_1)
	v_mul_u32_u24_e32 v9, 5, v82
	v_lshlrev_b32_e32 v34, 2, v9
	s_clause 0x2
	global_load_b32 v94, v8, s[4:5] offset:16
	global_load_b128 v[8:11], v34, s[4:5]
	global_load_b32 v98, v34, s[4:5] offset:16
	ds_load_2addr_b32 v[58:59], v67 offset0:164 offset1:224
	ds_load_2addr_b32 v[56:57], v29 offset0:12 offset1:72
	;; [unrolled: 1-line block ×13, first 2 shown]
	ds_load_b32 v99, v62 offset:8400
	ds_load_2addr_b32 v[60:61], v62 offset1:240
	ds_load_2addr_b32 v[100:101], v74 offset0:108 offset1:168
	ds_load_2addr_b32 v[102:103], v75 offset0:76 offset1:136
	ds_load_b32 v104, v70
	ds_load_b32 v105, v71
	;; [unrolled: 1-line block ×3, first 2 shown]
	s_waitcnt vmcnt(0) lgkmcnt(0)
	s_barrier
	buffer_gl0_inv
	v_lshrrev_b32_e32 v107, 16, v58
	v_lshrrev_b32_e32 v108, 16, v56
	;; [unrolled: 1-line block ×30, first 2 shown]
	s_delay_alu instid0(VALU_DEP_4) | instskip(NEXT) | instid1(VALU_DEP_4)
	v_mul_f16_e64 v138, v56, v133
	v_mul_f16_e64 v135, v58, v130
	;; [unrolled: 1-line block ×4, first 2 shown]
	s_delay_alu instid0(VALU_DEP_4)
	v_fma_f16 v108, v108, v1, -v138
	v_mul_f16_e64 v138, v52, v137
	v_fma_f16 v107, v107, v0, -v135
	v_mul_f16_e64 v135, v54, v136
	v_mul_f16_e64 v136, v109, v136
	v_mul_f16_e64 v137, v110, v137
	v_fma_f16 v110, v110, v3, -v138
	v_lshrrev_b32_e32 v138, 16, v5
	v_fma_f16 v109, v109, v2, -v135
	v_lshrrev_b32_e32 v135, 16, v4
	v_fmac_f16_e64 v133, v56, v1
	v_fmac_f16_e64 v136, v54, v2
	;; [unrolled: 1-line block ×3, first 2 shown]
	v_lshrrev_b32_e32 v2, 16, v6
	v_mul_f16_e64 v52, v112, v138
	v_mul_f16_e64 v56, v57, v138
	v_fmac_f16_e64 v130, v58, v0
	v_mul_f16_e64 v0, v111, v135
	v_mul_f16_e64 v3, v59, v135
	v_lshrrev_b32_e32 v54, 16, v7
	v_mul_f16_e32 v58, v113, v2
	v_fmac_f16_e32 v52, v57, v5
	v_mul_f16_e32 v2, v55, v2
	v_fma_f16 v5, v112, v5, -v56
	v_lshrrev_b32_e32 v56, 16, v20
	v_fmac_f16_e32 v0, v59, v4
	v_mul_f16_e32 v59, v114, v54
	v_fmac_f16_e32 v58, v55, v6
	v_mul_f16_e32 v54, v53, v54
	v_fma_f16 v3, v111, v4, -v3
	v_fma_f16 v2, v113, v6, -v2
	v_lshrrev_b32_e32 v6, 16, v21
	v_mul_f16_e32 v111, v48, v56
	v_lshrrev_b32_e32 v112, 16, v22
	v_lshrrev_b32_e32 v135, 16, v100
	v_fmac_f16_e32 v59, v53, v7
	v_fma_f16 v7, v114, v7, -v54
	v_lshrrev_b32_e32 v113, 16, v23
	v_mul_f16_e32 v114, v46, v6
	v_mul_f16_e32 v56, v115, v56
	v_fma_f16 v111, v115, v20, -v111
	v_mul_f16_e32 v115, v100, v112
	v_mul_f16_e32 v6, v116, v6
	v_fma_f16 v114, v116, v21, -v114
	v_mul_f16_e32 v116, v44, v113
	v_mul_f16_e64 v112, v135, v112
	v_fma_f16 v115, v135, v22, -v115
	v_lshrrev_b32_e32 v135, 16, v12
	v_mul_f16_e32 v113, v117, v113
	v_fma_f16 v116, v117, v23, -v116
	v_lshrrev_b32_e32 v117, 16, v13
	v_fmac_f16_e32 v56, v48, v20
	v_fmac_f16_e32 v6, v46, v21
	;; [unrolled: 1-line block ×3, first 2 shown]
	v_mul_f16_e64 v20, v35, v135
	v_lshrrev_b32_e32 v21, 16, v14
	v_lshrrev_b32_e32 v22, 16, v15
	v_fmac_f16_e32 v113, v44, v23
	v_mul_f16_e32 v23, v37, v117
	v_mul_f16_e64 v44, v121, v135
	v_fma_f16 v20, v121, v12, -v20
	v_mul_f16_e32 v46, v39, v21
	v_mul_f16_e32 v48, v122, v117
	;; [unrolled: 1-line block ×4, first 2 shown]
	v_lshrrev_b32_e32 v117, 16, v97
	v_mul_f16_e32 v22, v124, v22
	v_lshrrev_b32_e32 v121, 16, v96
	v_fma_f16 v100, v124, v15, -v100
	v_fmac_f16_e32 v44, v35, v12
	v_fmac_f16_e32 v48, v37, v13
	;; [unrolled: 1-line block ×4, first 2 shown]
	v_mul_f16_e32 v15, v125, v117
	v_mul_f16_e32 v35, v126, v121
	v_lshrrev_b32_e32 v37, 16, v16
	v_mul_f16_e32 v39, v51, v121
	v_lshrrev_b32_e32 v53, 16, v101
	v_fma_f16 v23, v122, v13, -v23
	v_mul_f16_e32 v12, v50, v117
	v_lshrrev_b32_e32 v13, 16, v95
	v_fmac_f16_e32 v15, v50, v97
	v_fmac_f16_e32 v35, v51, v96
	v_lshrrev_b32_e32 v50, 16, v18
	v_mul_f16_e32 v51, v118, v37
	v_fma_f16 v39, v126, v96, -v39
	v_lshrrev_b32_e32 v96, 16, v19
	v_lshrrev_b32_e32 v41, 16, v17
	v_mul_f16_e32 v37, v49, v37
	v_fmac_f16_e32 v51, v49, v16
	v_mul_f16_e32 v49, v42, v13
	v_mul_f16_e32 v117, v53, v50
	;; [unrolled: 1-line block ×4, first 2 shown]
	v_lshrrev_b32_e32 v138, 16, v103
	v_fma_f16 v46, v123, v14, -v46
	v_lshrrev_b32_e32 v14, 16, v93
	v_fma_f16 v12, v125, v97, -v12
	v_mul_f16_e32 v97, v119, v41
	v_mul_f16_e32 v41, v47, v41
	;; [unrolled: 1-line block ×3, first 2 shown]
	v_fmac_f16_e32 v117, v101, v18
	v_lshrrev_b32_e32 v101, 16, v8
	v_mul_f16_e32 v96, v45, v96
	v_fmac_f16_e32 v121, v45, v19
	v_lshrrev_b32_e32 v45, 16, v10
	v_fmac_f16_e32 v13, v42, v95
	v_lshrrev_b32_e32 v42, 16, v98
	v_lshrrev_b32_e32 v4, 16, v102
	v_fmac_f16_e32 v97, v47, v17
	v_lshrrev_b32_e32 v47, 16, v94
	v_lshrrev_b32_e32 v122, 16, v9
	v_mul_f16_e64 v123, v138, v14
	v_mul_f16_e32 v14, v103, v14
	v_lshrrev_b32_e32 v124, 16, v11
	v_fma_f16 v16, v118, v16, -v37
	v_fma_f16 v17, v119, v17, -v41
	v_mul_f16_e64 v41, v129, v101
	v_fma_f16 v19, v120, v19, -v96
	v_mul_f16_e64 v96, v132, v45
	v_mul_f16_e32 v45, v40, v45
	v_mul_f16_e64 v118, v134, v42
	v_mul_f16_e32 v42, v99, v42
	v_lshrrev_b32_e32 v54, 16, v104
	v_fma_f16 v49, v127, v95, -v49
	v_mul_f16_e64 v37, v128, v47
	v_mul_f16_e32 v47, v43, v47
	v_mul_f16_e32 v95, v36, v101
	v_fma_f16 v18, v53, v18, -v50
	v_mul_f16_e64 v50, v131, v122
	v_mul_f16_e32 v53, v38, v122
	v_fmac_f16_e32 v123, v103, v93
	v_mul_f16_e32 v101, v4, v124
	v_mul_f16_e32 v103, v102, v124
	v_fma_f16 v14, v138, v93, -v14
	v_fmac_f16_e32 v41, v36, v8
	v_fmac_f16_e32 v96, v40, v10
	v_fma_f16 v36, v134, v98, -v42
	v_fma_f16 v10, v132, v10, -v45
	v_lshrrev_b32_e32 v55, 16, v60
	v_fmac_f16_e32 v37, v43, v94
	v_fma_f16 v43, v128, v94, -v47
	v_fmac_f16_e32 v50, v38, v9
	v_fmac_f16_e32 v101, v102, v11
	;; [unrolled: 1-line block ×3, first 2 shown]
	v_fma_f16 v8, v129, v8, -v95
	v_fma_f16 v9, v131, v9, -v53
	;; [unrolled: 1-line block ×3, first 2 shown]
	v_add_f16_e32 v11, v48, v22
	v_add_f16_e32 v38, v60, v48
	v_sub_f16_e32 v40, v48, v22
	v_add_f16_e32 v45, v23, v100
	v_add_f16_e32 v48, v21, v123
	;; [unrolled: 1-line block ×4, first 2 shown]
	v_add_f16_e64 v94, v104, v133
	v_add_f16_e32 v99, v54, v108
	v_add_f16_e32 v102, v108, v110
	v_sub_f16_e32 v103, v108, v110
	v_add_f16_e64 v108, v130, v136
	v_add_f16_e32 v122, v107, v109
	v_add_f16_e32 v125, v10, v36
	;; [unrolled: 1-line block ×3, first 2 shown]
	v_sub_f16_e32 v23, v23, v100
	v_add_f16_e32 v47, v44, v21
	v_sub_f16_e32 v21, v21, v123
	v_sub_f16_e32 v46, v46, v14
	v_add_f16_e64 v95, v133, v137
	v_sub_f16_e64 v98, v133, v137
	v_add_f16_e64 v119, v136, v15
	v_sub_f16_e64 v120, v136, v15
	v_add_f16_e32 v124, v109, v12
	v_sub_f16_e32 v109, v109, v12
	v_add_f16_e32 v127, v96, v118
	v_add_f16_e64 v128, v8, v10
	v_sub_f16_e64 v129, v96, v118
	v_add_f16_e64 v133, v117, v37
	v_add_f16_e64 v134, v18, v43
	v_add_f16_e32 v22, v38, v22
	v_add_f16_e32 v38, v97, v121
	v_fmac_f16_e32 v55, -0.5, v45
	v_fma_f16 v11, -0.5, v11, v60
	v_fmac_f16_e32 v44, -0.5, v48
	v_add_f16_e32 v14, v53, v14
	v_fmac_f16_e32 v20, -0.5, v93
	v_add_f16_e64 v48, v94, v137
	v_add_f16_e32 v53, v99, v110
	v_add_f16_e32 v15, v108, v15
	;; [unrolled: 1-line block ×3, first 2 shown]
	v_fmac_f16_e32 v8, -0.5, v125
	v_lshrrev_b32_e32 v57, 16, v61
	v_add_f16_e64 v131, v50, v101
	v_add_f16_e32 v96, v41, v96
	v_sub_f16_e32 v10, v10, v36
	v_add_f16_e64 v135, v51, v117
	v_add_f16_e64 v136, v16, v18
	v_add_f16_e32 v42, v42, v100
	v_add_f16_e32 v100, v61, v97
	v_sub_f16_e32 v117, v117, v37
	v_sub_f16_e32 v18, v18, v43
	;; [unrolled: 1-line block ×3, first 2 shown]
	v_add_f16_e32 v47, v47, v123
	v_fmac_f16_e32 v104, -0.5, v95
	v_fmac_f16_e32 v54, -0.5, v102
	;; [unrolled: 1-line block ×4, first 2 shown]
	v_fmac_f16_e64 v51, -0.5, v133
	v_fmac_f16_e64 v16, -0.5, v134
	v_fmac_f16_e32 v61, -0.5, v38
	v_fmamk_f16 v38, v23, 0xbaee, v11
	v_fmac_f16_e32 v11, 0x3aee, v23
	v_fmamk_f16 v23, v40, 0x3aee, v55
	v_fmac_f16_e32 v55, 0xbaee, v40
	;; [unrolled: 2-line block ×4, first 2 shown]
	v_add_f16_e32 v95, v48, v15
	v_sub_f16_e32 v15, v48, v15
	v_add_f16_e32 v48, v53, v12
	v_sub_f16_e32 v12, v53, v12
	v_fma_f16 v53, 0x3aee, v129, v8
	v_fmac_f16_e64 v8, 0xbaee, v129
	v_lshrrev_b32_e32 v1, 16, v34
	v_add_f16_e32 v126, v34, v50
	v_sub_f16_e64 v132, v9, v4
	v_fmac_f16_e64 v130, -0.5, v119
	v_fmac_f16_e64 v34, -0.5, v131
	v_add_f16_e32 v21, v22, v47
	v_sub_f16_e32 v22, v22, v47
	v_add_f16_e32 v47, v42, v14
	v_sub_f16_e32 v14, v42, v14
	v_fmamk_f16 v42, v103, 0xbaee, v104
	v_fmac_f16_e32 v104, 0x3aee, v103
	v_fmamk_f16 v60, v98, 0x3aee, v54
	v_fmac_f16_e32 v54, 0xbaee, v98
	;; [unrolled: 2-line block ×7, first 2 shown]
	v_mul_f16_e32 v45, 0xbaee, v46
	v_mul_f16_e32 v46, 0.5, v46
	v_mul_f16_e32 v103, 0xbaee, v20
	v_mul_f16_e32 v20, -0.5, v20
	v_mul_f16_e32 v110, 0xbaee, v8
	v_fma_f16 v93, 0xbaee, v109, v130
	v_fmac_f16_e64 v130, 0x3aee, v109
	v_fma_f16 v10, 0xbaee, v132, v34
	v_fmac_f16_e64 v34, 0x3aee, v132
	v_mul_f16_e32 v108, 0xbaee, v94
	v_mul_f16_e32 v94, 0.5, v94
	v_mul_f16_e32 v109, 0xbaee, v107
	v_mul_f16_e32 v107, -0.5, v107
	v_mul_f16_e32 v117, 0xbaee, v16
	v_fmac_f16_e32 v45, 0.5, v40
	v_fmac_f16_e32 v46, 0x3aee, v40
	v_fmac_f16_e32 v20, 0x3aee, v44
	v_fmac_f16_e32 v110, -0.5, v41
	v_fmac_f16_e32 v103, -0.5, v44
	v_fmac_f16_e32 v108, 0.5, v93
	v_fmac_f16_e32 v94, 0x3aee, v93
	v_fmac_f16_e64 v109, -0.5, v130
	v_fmac_f16_e64 v107, 0x3aee, v130
	v_fmac_f16_e32 v117, -0.5, v51
	v_add_f16_e32 v40, v38, v45
	v_sub_f16_e32 v38, v38, v45
	v_add_f16_e32 v45, v23, v46
	v_sub_f16_e32 v23, v23, v46
	;; [unrolled: 2-line block ×4, first 2 shown]
	v_add_f16_e32 v110, v52, v59
	v_add_f16_e32 v44, v11, v103
	v_sub_f16_e32 v11, v11, v103
	v_add_f16_e32 v93, v61, v117
	v_sub_f16_e32 v61, v61, v117
	;; [unrolled: 2-line block ×6, first 2 shown]
	v_lshrrev_b32_e32 v107, 16, v105
	v_add_f16_e32 v117, v5, v7
	v_add_f16_e32 v119, v105, v52
	v_fmac_f16_e32 v105, -0.5, v110
	v_sub_f16_e32 v110, v5, v7
	v_add_f16_e32 v5, v107, v5
	v_fmac_f16_e32 v107, -0.5, v117
	v_add_f16_e32 v117, v119, v59
	v_sub_f16_e32 v52, v52, v59
	v_fmamk_f16 v59, v110, 0xbaee, v105
	v_fmac_f16_e32 v105, 0x3aee, v110
	v_add_f16_e32 v110, v2, v39
	v_add_f16_e32 v119, v58, v35
	v_add_f16_e32 v120, v3, v2
	v_add_f16_e32 v5, v5, v7
	v_fmamk_f16 v7, v52, 0x3aee, v107
	v_fmac_f16_e32 v3, -0.5, v110
	v_sub_f16_e32 v110, v58, v35
	v_add_f16_e32 v58, v0, v58
	v_fmac_f16_e32 v0, -0.5, v119
	v_sub_f16_e32 v2, v2, v39
	v_fmac_f16_e32 v107, 0xbaee, v52
	v_fmamk_f16 v52, v110, 0x3aee, v3
	v_fmac_f16_e32 v3, 0xbaee, v110
	v_add_f16_e32 v35, v58, v35
	v_fmamk_f16 v58, v2, 0xbaee, v0
	v_fmac_f16_e32 v0, 0x3aee, v2
	v_mul_f16_e32 v2, 0xbaee, v52
	v_mul_f16_e32 v52, 0.5, v52
	v_mul_f16_e32 v110, 0xbaee, v3
	v_mul_f16_e32 v3, -0.5, v3
	v_add_f16_e32 v39, v120, v39
	v_fmac_f16_e32 v2, 0.5, v58
	v_fmac_f16_e32 v52, 0x3aee, v58
	v_fmac_f16_e32 v110, -0.5, v0
	v_fmac_f16_e32 v3, 0x3aee, v0
	v_add_f16_e32 v0, v117, v35
	v_sub_f16_e32 v35, v117, v35
	v_add_f16_e32 v117, v6, v113
	v_add_f16_e32 v58, v59, v2
	v_sub_f16_e32 v2, v59, v2
	v_add_f16_e32 v59, v105, v110
	v_sub_f16_e32 v105, v105, v110
	;; [unrolled: 2-line block ×5, first 2 shown]
	v_lshrrev_b32_e32 v107, 16, v106
	v_add_f16_e32 v119, v114, v116
	v_add_f16_e32 v120, v106, v6
	v_fmac_f16_e32 v106, -0.5, v117
	v_sub_f16_e32 v117, v114, v116
	v_add_f16_e32 v114, v107, v114
	v_fmac_f16_e32 v107, -0.5, v119
	v_add_f16_e32 v119, v120, v113
	v_sub_f16_e32 v6, v6, v113
	v_fmamk_f16 v113, v117, 0xbaee, v106
	v_fmac_f16_e32 v106, 0x3aee, v117
	v_add_f16_e32 v117, v115, v49
	v_add_f16_e32 v120, v112, v13
	;; [unrolled: 1-line block ×4, first 2 shown]
	v_fmamk_f16 v116, v6, 0x3aee, v107
	v_fmac_f16_e32 v111, -0.5, v117
	v_sub_f16_e32 v117, v112, v13
	v_add_f16_e32 v112, v56, v112
	v_fmac_f16_e32 v56, -0.5, v120
	v_sub_f16_e32 v115, v115, v49
	v_fmac_f16_e32 v107, 0xbaee, v6
	v_fmamk_f16 v6, v117, 0x3aee, v111
	v_fmac_f16_e32 v111, 0xbaee, v117
	v_add_f16_e32 v13, v112, v13
	v_fmamk_f16 v112, v115, 0xbaee, v56
	v_fmac_f16_e32 v56, 0x3aee, v115
	v_sub_f16_e32 v97, v97, v121
	v_mul_f16_e32 v117, 0xbaee, v111
	v_mul_f16_e32 v111, -0.5, v111
	v_mul_f16_e32 v16, -0.5, v16
	v_sub_f16_e32 v50, v50, v101
	v_add_f16_e32 v100, v100, v121
	v_fmac_f16_e32 v117, -0.5, v56
	v_fmac_f16_e32 v111, 0x3aee, v56
	v_add_f16_e32 v56, v119, v13
	v_sub_f16_e32 v13, v119, v13
	v_add_f16_e32 v119, v17, v19
	v_add_f16_e32 v17, v57, v17
	v_add_f16_e64 v37, v135, v37
	v_add_f16_e64 v43, v136, v43
	v_fmac_f16_e32 v16, 0x3aee, v51
	v_fmac_f16_e32 v57, -0.5, v119
	v_add_f16_e32 v17, v17, v19
	v_add_f16_e32 v51, v100, v37
	v_sub_f16_e32 v37, v100, v37
	v_mul_f16_e32 v8, -0.5, v8
	v_fmamk_f16 v19, v97, 0x3aee, v57
	v_fmac_f16_e32 v57, 0xbaee, v97
	v_mul_f16_e32 v97, 0xbaee, v99
	v_mul_f16_e32 v99, 0.5, v99
	v_add_f16_e32 v96, v96, v118
	v_add_f16_e64 v36, v128, v36
	v_fmac_f16_e32 v8, 0x3aee, v41
	v_fmac_f16_e32 v97, 0.5, v102
	v_fmac_f16_e32 v99, 0x3aee, v102
	v_add_f16_e32 v102, v9, v4
	v_add_f16_e32 v9, v1, v9
	v_pack_b32_f16 v21, v21, v47
	v_add_f16_e32 v100, v18, v97
	v_sub_f16_e32 v18, v18, v97
	v_fmac_f16_e32 v1, -0.5, v102
	v_add_f16_e32 v4, v9, v4
	v_add_f16_e32 v97, v17, v43
	v_sub_f16_e32 v17, v17, v43
	v_add_f16_e32 v43, v19, v99
	v_fmamk_f16 v9, v50, 0x3aee, v1
	v_fmac_f16_e32 v1, 0xbaee, v50
	v_mul_f16_e32 v50, 0xbaee, v53
	v_sub_f16_e32 v19, v19, v99
	v_add_f16_e32 v99, v57, v16
	v_sub_f16_e32 v16, v57, v16
	v_add_f16_e32 v57, v126, v101
	v_mul_f16_e32 v53, 0.5, v53
	v_fmac_f16_e32 v50, 0.5, v98
	v_pack_b32_f16 v14, v22, v14
	v_pack_b32_f16 v11, v11, v20
	v_add_f16_e32 v41, v57, v96
	v_fmac_f16_e32 v53, 0x3aee, v98
	v_sub_f16_e32 v57, v57, v96
	v_add_f16_e32 v96, v10, v50
	v_sub_f16_e32 v10, v10, v50
	v_add_f16_e32 v50, v4, v36
	v_sub_f16_e32 v4, v4, v36
	v_mul_u32_u24_e32 v36, 0xf0, v91
	v_lshlrev_b32_e32 v91, 2, v92
	v_add_f16_e32 v92, v9, v53
	v_sub_f16_e32 v9, v9, v53
	v_add_f16_e32 v53, v1, v8
	v_sub_f16_e32 v1, v1, v8
	v_add3_u32 v8, 0, v36, v91
	v_pack_b32_f16 v36, v40, v45
	v_pack_b32_f16 v40, v44, v46
	v_and_b32_e32 v44, 0xffff, v83
	ds_store_2addr_b32 v8, v21, v36 offset1:10
	ds_store_2addr_b32 v8, v40, v14 offset0:20 offset1:30
	v_pack_b32_f16 v14, v38, v23
	v_mul_u32_u24_e32 v22, 0xf0, v44
	v_lshlrev_b32_e32 v44, 2, v86
	v_mul_f16_e32 v115, 0xbaee, v6
	v_mul_f16_e32 v6, 0.5, v6
	v_pack_b32_f16 v21, v95, v48
	v_pack_b32_f16 v23, v103, v109
	v_add3_u32 v20, 0, v22, v44
	v_and_b32_e32 v22, 0xffff, v84
	ds_store_2addr_b32 v8, v14, v11 offset0:40 offset1:50
	v_lshlrev_b32_e32 v11, 2, v85
	v_pack_b32_f16 v36, v108, v94
	v_pack_b32_f16 v12, v15, v12
	v_mul_u32_u24_e32 v8, 0xf0, v22
	v_add_f16_e32 v49, v122, v49
	v_fmac_f16_e32 v115, 0.5, v112
	v_fmac_f16_e32 v6, 0x3aee, v112
	ds_store_2addr_b32 v20, v21, v23 offset1:10
	ds_store_2addr_b32 v20, v36, v12 offset0:20 offset1:30
	v_pack_b32_f16 v12, v42, v60
	v_pack_b32_f16 v14, v104, v54
	v_add3_u32 v8, 0, v8, v11
	v_and_b32_e32 v11, 0xffff, v87
	v_add_f16_e32 v112, v113, v115
	v_sub_f16_e32 v113, v113, v115
	v_add_f16_e32 v115, v106, v117
	v_sub_f16_e32 v106, v106, v117
	;; [unrolled: 2-line block ×3, first 2 shown]
	v_add_f16_e32 v114, v116, v6
	v_pack_b32_f16 v0, v0, v110
	v_pack_b32_f16 v15, v58, v39
	ds_store_2addr_b32 v20, v12, v14 offset0:40 offset1:50
	v_mul_u32_u24_e32 v11, 0xf0, v11
	v_lshlrev_b32_e32 v12, 2, v88
	v_sub_f16_e32 v6, v116, v6
	v_add_f16_e32 v116, v107, v111
	v_pack_b32_f16 v21, v59, v52
	v_pack_b32_f16 v5, v35, v5
	v_sub_f16_e32 v107, v107, v111
	ds_store_2addr_b32 v8, v0, v15 offset1:10
	ds_store_2addr_b32 v8, v21, v5 offset0:20 offset1:30
	v_pack_b32_f16 v0, v2, v7
	v_pack_b32_f16 v2, v105, v3
	v_add3_u32 v3, 0, v11, v12
	v_pack_b32_f16 v5, v56, v117
	v_pack_b32_f16 v7, v112, v114
	;; [unrolled: 1-line block ×4, first 2 shown]
	ds_store_2addr_b32 v8, v0, v2 offset0:40 offset1:50
	ds_store_2addr_b32 v3, v5, v7 offset1:10
	ds_store_2addr_b32 v3, v11, v12 offset0:20 offset1:30
	v_pack_b32_f16 v5, v113, v6
	v_pack_b32_f16 v6, v106, v107
	v_mul_lo_u16 v11, 0x89, v78
	v_mul_u32_u24_e32 v0, 0xf0, v89
	v_lshlrev_b32_e32 v2, 2, v90
	v_pack_b32_f16 v7, v100, v43
	ds_store_2addr_b32 v3, v5, v6 offset0:40 offset1:50
	v_lshrrev_b16 v6, 13, v11
	v_pack_b32_f16 v8, v93, v99
	v_add3_u32 v0, 0, v0, v2
	v_pack_b32_f16 v2, v51, v97
	v_pack_b32_f16 v12, v37, v17
	v_mul_u32_u24_e32 v3, 0xf0, v81
	v_lshlrev_b32_e32 v5, 2, v82
	v_mul_lo_u16 v6, v6, 60
	ds_store_2addr_b32 v0, v2, v7 offset1:10
	ds_store_2addr_b32 v0, v8, v12 offset0:20 offset1:30
	v_pack_b32_f16 v2, v18, v19
	v_pack_b32_f16 v7, v61, v16
	v_add3_u32 v3, 0, v3, v5
	v_pack_b32_f16 v8, v41, v50
	v_pack_b32_f16 v11, v96, v92
	v_pack_b32_f16 v12, v55, v53
	v_sub_nc_u16 v5, v33, v6
	v_pack_b32_f16 v4, v57, v4
	v_pack_b32_f16 v6, v10, v9
	;; [unrolled: 1-line block ×3, first 2 shown]
	ds_store_2addr_b32 v0, v2, v7 offset0:40 offset1:50
	ds_store_2addr_b32 v3, v8, v11 offset1:10
	ds_store_2addr_b32 v3, v12, v4 offset0:20 offset1:30
	ds_store_2addr_b32 v3, v6, v1 offset0:40 offset1:50
	v_mul_lo_u16 v1, 0x89, v77
	v_and_b32_e32 v5, 0xff, v5
	v_mul_u32_u24_e32 v9, 5, v24
	v_mul_u32_u24_e32 v2, 0x8889, v80
	s_waitcnt lgkmcnt(0)
	v_lshrrev_b16 v1, 13, v1
	v_mul_u32_u24_e32 v0, 5, v5
	v_lshlrev_b32_e32 v4, 2, v9
	s_barrier
	buffer_gl0_inv
	v_mul_lo_u16 v1, v1, 60
	v_lshlrev_b32_e32 v0, 2, v0
	s_clause 0x1
	global_load_b128 v[9:12], v4, s[4:5] offset:200
	global_load_b128 v[13:16], v0, s[4:5] offset:200
	v_sub_nc_u16 v1, v32, v1
	v_mul_u32_u24_e32 v3, 0x8889, v79
	v_lshl_add_u32 v5, v5, 2, 0
	s_delay_alu instid0(VALU_DEP_3) | instskip(SKIP_1) | instid1(VALU_DEP_4)
	v_and_b32_e32 v7, 0xff, v1
	v_lshrrev_b32_e32 v1, 21, v2
	v_lshrrev_b32_e32 v3, 21, v3
	s_delay_alu instid0(VALU_DEP_3) | instskip(NEXT) | instid1(VALU_DEP_3)
	v_mul_u32_u24_e32 v2, 5, v7
	v_mul_lo_u16 v1, v1, 60
	s_delay_alu instid0(VALU_DEP_3) | instskip(NEXT) | instid1(VALU_DEP_3)
	v_mul_lo_u16 v3, v3, 60
	v_lshlrev_b32_e32 v2, 2, v2
	s_delay_alu instid0(VALU_DEP_3) | instskip(NEXT) | instid1(VALU_DEP_3)
	v_sub_nc_u16 v1, v73, v1
	v_sub_nc_u16 v3, v76, v3
	global_load_b128 v[17:20], v2, s[4:5] offset:200
	v_and_b32_e32 v6, 0xffff, v1
	v_and_b32_e32 v8, 0xffff, v3
	s_delay_alu instid0(VALU_DEP_2) | instskip(NEXT) | instid1(VALU_DEP_2)
	v_mul_u32_u24_e32 v1, 5, v6
	v_mul_u32_u24_e32 v3, 5, v8
	v_lshl_add_u32 v6, v6, 2, 0
	s_delay_alu instid0(VALU_DEP_3) | instskip(NEXT) | instid1(VALU_DEP_3)
	v_lshlrev_b32_e32 v1, 2, v1
	v_lshlrev_b32_e32 v3, 2, v3
	s_clause 0x6
	global_load_b128 v[34:37], v1, s[4:5] offset:200
	global_load_b128 v[38:41], v3, s[4:5] offset:200
	global_load_b32 v80, v2, s[4:5] offset:216
	global_load_b32 v81, v1, s[4:5] offset:216
	;; [unrolled: 1-line block ×5, first 2 shown]
	ds_load_2addr_b32 v[21:22], v66 offset0:124 offset1:184
	ds_load_2addr_b32 v[42:43], v25 offset0:100 offset1:160
	;; [unrolled: 1-line block ×8, first 2 shown]
	ds_load_2addr_b32 v[2:3], v62 offset1:240
	ds_load_2addr_b32 v[54:55], v75 offset0:76 offset1:136
	ds_load_2addr_b32 v[56:57], v65 offset0:68 offset1:128
	;; [unrolled: 1-line block ×6, first 2 shown]
	s_waitcnt lgkmcnt(14)
	v_lshrrev_b32_e32 v23, 16, v22
	s_waitcnt lgkmcnt(13)
	v_lshrrev_b32_e32 v85, 16, v43
	;; [unrolled: 2-line block ×7, first 2 shown]
	v_lshrrev_b32_e32 v90, 16, v45
	v_lshrrev_b32_e32 v91, 16, v47
	s_waitcnt lgkmcnt(7)
	v_lshrrev_b32_e32 v94, 16, v53
	v_lshrrev_b32_e32 v92, 16, v49
	s_waitcnt vmcnt(9)
	v_lshrrev_b32_e32 v95, 16, v9
	v_lshrrev_b32_e32 v97, 16, v11
	;; [unrolled: 1-line block ×4, first 2 shown]
	s_waitcnt vmcnt(8)
	v_lshrrev_b32_e32 v99, 16, v13
	v_mul_f16_e32 v100, v95, v93
	v_mul_f16_e32 v101, v95, v1
	;; [unrolled: 1-line block ×9, first 2 shown]
	v_fmac_f16_e32 v100, v9, v1
	v_lshrrev_b32_e32 v1, 16, v14
	v_mul_f16_e32 v102, v96, v94
	v_mul_f16_e32 v103, v96, v53
	;; [unrolled: 1-line block ×7, first 2 shown]
	v_fma_f16 v93, v9, v93, -v101
	v_fma_f16 v101, v23, v11, -v105
	;; [unrolled: 1-line block ×3, first 2 shown]
	v_fmac_f16_e32 v104, v22, v11
	v_fmac_f16_e32 v108, v44, v9
	;; [unrolled: 1-line block ×3, first 2 shown]
	v_fma_f16 v44, v88, v11, -v97
	v_fmac_f16_e32 v111, v50, v12
	v_mul_f16_e32 v48, v90, v99
	v_lshrrev_b32_e32 v9, 16, v51
	v_lshrrev_b32_e32 v11, 16, v15
	v_mul_f16_e32 v50, v91, v1
	v_lshrrev_b32_e32 v22, 16, v16
	v_mul_f16_e32 v1, v47, v1
	v_fma_f16 v94, v10, v94, -v103
	v_fma_f16 v85, v85, v12, -v107
	v_fmac_f16_e32 v102, v10, v53
	v_fmac_f16_e32 v106, v43, v12
	;; [unrolled: 1-line block ×3, first 2 shown]
	v_fma_f16 v43, v87, v10, -v96
	v_fma_f16 v46, v89, v12, -v98
	s_waitcnt lgkmcnt(3)
	v_lshrrev_b32_e32 v10, 16, v58
	v_fmac_f16_e32 v48, v45, v13
	v_mul_f16_e32 v12, v45, v99
	v_mul_f16_e32 v45, v92, v11
	v_fmac_f16_e32 v50, v47, v14
	v_mul_f16_e32 v47, v9, v22
	v_mul_f16_e32 v11, v49, v11
	v_mul_f16_e32 v22, v51, v22
	v_fma_f16 v88, v91, v14, -v1
	s_waitcnt vmcnt(7)
	v_lshrrev_b32_e32 v1, 16, v17
	s_waitcnt lgkmcnt(2)
	v_lshrrev_b32_e32 v23, 16, v60
	v_fma_f16 v87, v90, v13, -v12
	v_fma_f16 v89, v92, v15, -v11
	v_lshrrev_b32_e32 v11, 16, v18
	v_fma_f16 v90, v9, v16, -v22
	v_lshrrev_b32_e32 v9, 16, v19
	v_mul_f16_e32 v91, v10, v1
	v_mul_f16_e32 v1, v58, v1
	v_fmac_f16_e32 v45, v49, v15
	s_waitcnt lgkmcnt(1)
	v_lshrrev_b32_e32 v49, 16, v76
	v_mul_f16_e32 v92, v23, v11
	v_mul_f16_e32 v11, v60, v11
	v_fmac_f16_e32 v91, v58, v17
	v_fma_f16 v58, v10, v17, -v1
	v_mul_f16_e32 v1, v76, v9
	s_waitcnt lgkmcnt(0)
	v_lshrrev_b32_e32 v53, 16, v78
	v_fmac_f16_e32 v47, v51, v16
	v_lshrrev_b32_e32 v51, 16, v59
	v_lshrrev_b32_e32 v12, 16, v61
	;; [unrolled: 1-line block ×3, first 2 shown]
	v_fmac_f16_e32 v92, v60, v18
	v_mul_f16_e32 v60, v49, v9
	v_fma_f16 v95, v23, v18, -v11
	s_waitcnt vmcnt(6)
	v_lshrrev_b32_e32 v11, 16, v34
	v_fma_f16 v49, v49, v19, -v1
	v_lshrrev_b32_e32 v1, 16, v35
	v_mul_f16_e32 v96, v53, v13
	v_mul_f16_e32 v9, v78, v13
	v_fmac_f16_e32 v60, v76, v19
	v_mul_f16_e32 v10, v51, v11
	v_lshrrev_b32_e32 v13, 16, v79
	v_lshrrev_b32_e32 v14, 16, v36
	v_mul_f16_e32 v76, v12, v1
	v_lshrrev_b32_e32 v15, 16, v37
	v_fmac_f16_e32 v96, v78, v20
	v_fma_f16 v20, v53, v20, -v9
	v_lshrrev_b32_e32 v9, 16, v77
	ds_load_b32 v53, v70
	v_fmac_f16_e32 v10, v59, v34
	v_mul_f16_e32 v11, v59, v11
	ds_load_b32 v59, v71
	ds_load_b32 v78, v72
	v_fmac_f16_e32 v76, v61, v35
	v_mul_f16_e32 v1, v61, v1
	v_mul_f16_e32 v61, v13, v15
	;; [unrolled: 1-line block ×4, first 2 shown]
	ds_load_2addr_b32 v[22:23], v65 offset0:188 offset1:248
	v_mul_f16_e32 v16, v9, v14
	v_fmac_f16_e32 v61, v79, v37
	v_fma_f16 v14, v51, v34, -v11
	v_fma_f16 v34, v12, v35, -v1
	v_lshrrev_b32_e32 v11, 16, v52
	s_waitcnt vmcnt(5)
	v_lshrrev_b32_e32 v12, 16, v38
	v_fma_f16 v35, v9, v36, -v17
	v_fma_f16 v37, v13, v37, -v15
	v_lshrrev_b32_e32 v13, 16, v21
	v_lshrrev_b32_e32 v9, 16, v39
	v_mul_f16_e32 v1, v11, v12
	v_lshrrev_b32_e32 v17, 16, v42
	v_mul_f16_e32 v12, v52, v12
	;; [unrolled: 2-line block ×3, first 2 shown]
	v_mul_f16_e32 v18, v21, v9
	v_fmac_f16_e32 v1, v52, v38
	v_fma_f16 v9, v11, v38, -v12
	v_mul_f16_e32 v11, v17, v19
	v_fmac_f16_e32 v15, v21, v39
	v_lshrrev_b32_e32 v21, 16, v41
	v_fma_f16 v18, v13, v39, -v18
	v_lshrrev_b32_e32 v38, 16, v54
	v_mul_f16_e32 v13, v42, v19
	s_waitcnt lgkmcnt(0)
	v_lshrrev_b32_e32 v12, 16, v22
	v_fmac_f16_e32 v11, v42, v40
	v_mul_f16_e32 v39, v54, v21
	s_waitcnt vmcnt(4)
	v_lshrrev_b32_e32 v42, 16, v80
	v_mul_f16_e32 v19, v38, v21
	v_fma_f16 v13, v17, v40, -v13
	ds_load_b32 v40, v62 offset:8400
	v_lshrrev_b32_e32 v51, 16, v57
	v_fma_f16 v17, v38, v41, -v39
	v_mul_f16_e32 v38, v22, v42
	v_fmac_f16_e32 v19, v54, v41
	v_mul_f16_e32 v41, v12, v42
	s_waitcnt vmcnt(2)
	v_lshrrev_b32_e32 v42, 16, v82
	v_lshrrev_b32_e32 v21, 16, v23
	;; [unrolled: 1-line block ×3, first 2 shown]
	v_fma_f16 v38, v12, v80, -v38
	s_waitcnt vmcnt(1)
	v_lshrrev_b32_e32 v12, 16, v83
	v_fmac_f16_e32 v41, v22, v80
	v_mul_f16_e32 v22, v51, v42
	v_mul_f16_e32 v42, v57, v42
	v_fmac_f16_e32 v16, v77, v36
	v_lshrrev_b32_e32 v77, 16, v55
	v_mul_f16_e32 v52, v21, v39
	v_lshrrev_b32_e32 v36, 16, v56
	v_fma_f16 v42, v51, v82, -v42
	v_mul_f16_e32 v51, v55, v12
	v_fmac_f16_e32 v22, v57, v82
	v_fmac_f16_e32 v52, v23, v81
	v_mul_f16_e32 v23, v23, v39
	v_mul_f16_e32 v57, v77, v12
	v_fma_f16 v51, v77, v83, -v51
	s_waitcnt lgkmcnt(0)
	v_lshrrev_b32_e32 v77, 16, v40
	s_waitcnt vmcnt(0)
	v_lshrrev_b32_e32 v80, 16, v84
	v_mul_f16_e32 v39, v36, v12
	v_fma_f16 v21, v21, v81, -v23
	v_fmac_f16_e32 v57, v55, v83
	v_add_f16_e32 v55, v102, v106
	v_mul_f16_e32 v23, v77, v80
	v_lshrrev_b32_e32 v97, 16, v2
	v_fmac_f16_e32 v39, v56, v83
	v_mul_f16_e32 v56, v56, v12
	v_mul_f16_e32 v80, v40, v80
	v_fmac_f16_e32 v23, v40, v84
	v_add_f16_e32 v40, v2, v102
	v_fma_f16 v2, -0.5, v55, v2
	v_sub_f16_e32 v55, v94, v85
	v_fma_f16 v36, v36, v83, -v56
	v_fma_f16 v77, v77, v84, -v80
	v_add_f16_e32 v80, v94, v85
	v_add_f16_e32 v81, v97, v94
	v_fmamk_f16 v83, v55, 0xbaee, v2
	v_fmac_f16_e32 v2, 0x3aee, v55
	v_add_f16_e32 v55, v101, v51
	v_fmac_f16_e32 v97, -0.5, v80
	v_sub_f16_e32 v80, v102, v106
	v_add_f16_e32 v81, v81, v85
	v_add_f16_e32 v85, v104, v57
	v_add_f16_e32 v94, v93, v101
	v_fmac_f16_e32 v93, -0.5, v55
	v_sub_f16_e32 v55, v104, v57
	v_fmamk_f16 v84, v80, 0x3aee, v97
	v_add_f16_e32 v98, v100, v104
	v_fmac_f16_e32 v100, -0.5, v85
	v_sub_f16_e32 v85, v101, v51
	v_fmac_f16_e32 v97, 0xbaee, v80
	v_fmamk_f16 v80, v55, 0x3aee, v93
	v_fmac_f16_e32 v93, 0xbaee, v55
	v_add_f16_e32 v55, v98, v57
	v_fmamk_f16 v57, v85, 0xbaee, v100
	v_fmac_f16_e32 v100, 0x3aee, v85
	v_mul_f16_e32 v85, 0xbaee, v80
	v_mul_f16_e32 v98, 0xbaee, v93
	v_add_f16_e32 v51, v94, v51
	v_mul_f16_e32 v80, 0.5, v80
	v_mul_f16_e32 v93, -0.5, v93
	v_lshrrev_b32_e32 v79, 16, v53
	v_fmac_f16_e32 v98, -0.5, v100
	v_add_f16_e32 v40, v40, v106
	v_fmac_f16_e32 v80, 0x3aee, v57
	v_fmac_f16_e32 v93, 0x3aee, v100
	v_add_f16_e32 v100, v81, v51
	v_sub_f16_e32 v51, v81, v51
	v_add_f16_e32 v81, v109, v111
	v_fmac_f16_e32 v85, 0.5, v57
	v_add_f16_e32 v101, v84, v80
	v_sub_f16_e32 v80, v84, v80
	v_add_f16_e32 v84, v53, v109
	v_fmac_f16_e32 v53, -0.5, v81
	v_sub_f16_e32 v81, v43, v46
	v_add_f16_e32 v94, v40, v55
	v_add_f16_e32 v57, v83, v85
	v_sub_f16_e32 v40, v40, v55
	v_add_f16_e32 v55, v97, v93
	v_sub_f16_e32 v83, v83, v85
	v_sub_f16_e32 v85, v97, v93
	v_add_f16_e32 v93, v43, v46
	v_fmamk_f16 v97, v81, 0xbaee, v53
	v_fmac_f16_e32 v53, 0x3aee, v81
	v_add_f16_e32 v81, v44, v36
	v_add_f16_e32 v99, v2, v98
	v_sub_f16_e32 v2, v2, v98
	v_add_f16_e32 v43, v79, v43
	v_fmac_f16_e32 v79, -0.5, v93
	v_sub_f16_e32 v93, v109, v111
	v_add_f16_e32 v98, v110, v39
	v_add_f16_e32 v102, v86, v44
	v_fmac_f16_e32 v86, -0.5, v81
	v_sub_f16_e32 v81, v110, v39
	v_add_f16_e32 v43, v43, v46
	v_fmamk_f16 v46, v93, 0x3aee, v79
	v_add_f16_e32 v103, v108, v110
	v_fmac_f16_e32 v108, -0.5, v98
	v_sub_f16_e32 v44, v44, v36
	v_fmac_f16_e32 v79, 0xbaee, v93
	v_fmamk_f16 v93, v81, 0x3aee, v86
	v_fmac_f16_e32 v86, 0xbaee, v81
	v_add_f16_e32 v36, v102, v36
	v_fmamk_f16 v81, v44, 0xbaee, v108
	v_fmac_f16_e32 v108, 0x3aee, v44
	v_mul_f16_e32 v44, 0xbaee, v93
	v_mul_f16_e32 v93, 0.5, v93
	v_mul_f16_e32 v98, 0xbaee, v86
	v_mul_f16_e32 v86, -0.5, v86
	v_add_f16_e32 v104, v43, v36
	v_sub_f16_e32 v36, v43, v36
	v_fmac_f16_e32 v93, 0x3aee, v81
	v_add_f16_e32 v43, v50, v47
	v_lshrrev_b32_e32 v54, 16, v59
	v_add_f16_e32 v84, v84, v111
	v_add_f16_e32 v39, v103, v39
	v_fmac_f16_e32 v86, 0x3aee, v108
	v_add_f16_e32 v105, v46, v93
	v_sub_f16_e32 v46, v46, v93
	v_add_f16_e32 v93, v59, v50
	v_fmac_f16_e32 v59, -0.5, v43
	v_sub_f16_e32 v43, v88, v90
	v_fmac_f16_e32 v44, 0.5, v81
	v_add_f16_e32 v102, v84, v39
	v_sub_f16_e32 v39, v84, v39
	v_add_f16_e32 v84, v79, v86
	v_sub_f16_e32 v79, v79, v86
	v_add_f16_e32 v86, v88, v90
	v_add_f16_e32 v93, v93, v47
	;; [unrolled: 1-line block ×3, first 2 shown]
	v_sub_f16_e32 v47, v50, v47
	v_fmamk_f16 v50, v43, 0xbaee, v59
	v_fmac_f16_e32 v59, 0x3aee, v43
	v_add_f16_e32 v43, v89, v42
	v_add_f16_e32 v81, v97, v44
	v_sub_f16_e32 v44, v97, v44
	v_fmac_f16_e32 v54, -0.5, v86
	v_add_f16_e32 v86, v88, v90
	v_add_f16_e32 v90, v45, v22
	;; [unrolled: 1-line block ×3, first 2 shown]
	v_fmac_f16_e32 v87, -0.5, v43
	v_sub_f16_e32 v43, v45, v22
	v_fmamk_f16 v88, v47, 0x3aee, v54
	v_add_f16_e32 v45, v48, v45
	v_fmac_f16_e32 v48, -0.5, v90
	v_sub_f16_e32 v89, v89, v42
	v_fmac_f16_e32 v54, 0xbaee, v47
	v_fmamk_f16 v47, v43, 0x3aee, v87
	v_fmac_f16_e32 v87, 0xbaee, v43
	v_add_f16_e32 v22, v45, v22
	v_fmamk_f16 v43, v89, 0xbaee, v48
	v_fmac_f16_e32 v48, 0x3aee, v89
	v_mul_f16_e32 v45, 0xbaee, v47
	v_mul_f16_e32 v89, 0xbaee, v87
	v_mul_f16_e32 v47, 0.5, v47
	v_mul_f16_e32 v87, -0.5, v87
	v_add_f16_e32 v42, v97, v42
	v_fmac_f16_e32 v45, 0.5, v43
	v_fmac_f16_e32 v89, -0.5, v48
	v_fmac_f16_e32 v47, 0x3aee, v43
	v_fmac_f16_e32 v87, 0x3aee, v48
	v_lshrrev_b32_e32 v82, 16, v78
	v_add_f16_e32 v43, v50, v45
	v_add_f16_e32 v48, v59, v89
	v_sub_f16_e32 v45, v50, v45
	v_sub_f16_e32 v50, v59, v89
	v_add_f16_e32 v59, v92, v96
	v_add_f16_e32 v97, v86, v42
	v_sub_f16_e32 v42, v86, v42
	v_add_f16_e32 v86, v78, v92
	v_fmac_f16_e32 v98, -0.5, v108
	v_fmac_f16_e32 v78, -0.5, v59
	v_sub_f16_e32 v59, v95, v20
	v_add_f16_e32 v90, v93, v22
	v_sub_f16_e32 v22, v93, v22
	v_add_f16_e32 v93, v54, v87
	v_sub_f16_e32 v54, v54, v87
	v_add_f16_e32 v87, v95, v20
	v_fmamk_f16 v89, v59, 0xbaee, v78
	v_fmac_f16_e32 v78, 0x3aee, v59
	v_add_f16_e32 v59, v49, v38
	v_add_f16_e32 v103, v53, v98
	v_sub_f16_e32 v53, v53, v98
	v_add_f16_e32 v98, v88, v47
	v_sub_f16_e32 v47, v88, v47
	v_add_f16_e32 v88, v82, v95
	v_fmac_f16_e32 v82, -0.5, v87
	v_sub_f16_e32 v87, v92, v96
	v_add_f16_e32 v92, v60, v41
	v_add_f16_e32 v95, v58, v49
	v_fmac_f16_e32 v58, -0.5, v59
	v_sub_f16_e32 v59, v60, v41
	v_add_f16_e32 v20, v88, v20
	v_fmamk_f16 v88, v87, 0x3aee, v82
	v_add_f16_e32 v60, v91, v60
	v_fmac_f16_e32 v91, -0.5, v92
	v_sub_f16_e32 v49, v49, v38
	v_fmac_f16_e32 v82, 0xbaee, v87
	v_fmamk_f16 v87, v59, 0x3aee, v58
	v_fmac_f16_e32 v58, 0xbaee, v59
	v_add_f16_e32 v41, v60, v41
	v_fmamk_f16 v59, v49, 0xbaee, v91
	v_fmac_f16_e32 v91, 0x3aee, v49
	v_mul_f16_e32 v49, 0xbaee, v87
	v_mul_f16_e32 v60, 0xbaee, v58
	v_add_f16_e32 v38, v95, v38
	v_mul_f16_e32 v87, 0.5, v87
	v_mul_f16_e32 v58, -0.5, v58
	v_lshrrev_b32_e32 v56, 16, v3
	v_fmac_f16_e32 v60, -0.5, v91
	v_add_f16_e32 v95, v20, v38
	v_fmac_f16_e32 v87, 0x3aee, v59
	v_sub_f16_e32 v20, v20, v38
	v_add_f16_e32 v38, v76, v61
	v_add_f16_e32 v86, v86, v96
	v_fmac_f16_e32 v58, 0x3aee, v91
	v_add_f16_e32 v91, v78, v60
	v_add_f16_e32 v96, v88, v87
	v_sub_f16_e32 v60, v78, v60
	v_sub_f16_e32 v78, v88, v87
	v_add_f16_e32 v87, v3, v76
	v_fmac_f16_e32 v3, -0.5, v38
	v_sub_f16_e32 v38, v34, v37
	v_add_f16_e32 v92, v86, v41
	v_sub_f16_e32 v41, v86, v41
	v_add_f16_e32 v86, v82, v58
	;; [unrolled: 2-line block ×3, first 2 shown]
	v_add_f16_e32 v87, v87, v61
	v_sub_f16_e32 v61, v76, v61
	v_fmamk_f16 v76, v38, 0xbaee, v3
	v_fmac_f16_e32 v3, 0x3aee, v38
	v_add_f16_e32 v38, v35, v21
	v_add_f16_e32 v34, v56, v34
	v_fmac_f16_e32 v56, -0.5, v82
	v_add_f16_e32 v82, v16, v52
	v_add_f16_e32 v88, v14, v35
	v_fmac_f16_e32 v14, -0.5, v38
	v_sub_f16_e32 v38, v16, v52
	v_add_f16_e32 v34, v34, v37
	v_fmamk_f16 v37, v61, 0x3aee, v56
	v_add_f16_e32 v16, v10, v16
	v_fmac_f16_e32 v10, -0.5, v82
	v_sub_f16_e32 v35, v35, v21
	v_fmac_f16_e32 v56, 0xbaee, v61
	v_fmamk_f16 v61, v38, 0x3aee, v14
	v_fmac_f16_e32 v14, 0xbaee, v38
	v_add_f16_e32 v16, v16, v52
	v_fmamk_f16 v38, v35, 0xbaee, v10
	v_fmac_f16_e32 v10, 0x3aee, v35
	v_add_f16_e32 v21, v88, v21
	v_mul_f16_e32 v52, 0xbaee, v14
	v_mul_f16_e32 v35, 0xbaee, v61
	v_mul_f16_e32 v61, 0.5, v61
	v_mul_f16_e32 v14, -0.5, v14
	v_add_f16_e32 v88, v34, v21
	v_fmac_f16_e32 v52, -0.5, v10
	v_sub_f16_e32 v21, v34, v21
	v_add_f16_e32 v34, v15, v19
	v_lshrrev_b32_e32 v12, 16, v0
	v_fmac_f16_e32 v35, 0.5, v38
	v_fmac_f16_e32 v61, 0x3aee, v38
	v_fmac_f16_e32 v14, 0x3aee, v10
	v_add_f16_e32 v38, v3, v52
	v_sub_f16_e32 v3, v3, v52
	v_add_f16_e32 v52, v0, v15
	v_fmac_f16_e32 v0, -0.5, v34
	v_sub_f16_e32 v34, v18, v17
	v_fmac_f16_e32 v49, 0.5, v59
	v_add_f16_e32 v82, v87, v16
	v_sub_f16_e32 v16, v87, v16
	v_add_f16_e32 v87, v56, v14
	v_sub_f16_e32 v14, v56, v14
	v_add_f16_e32 v56, v18, v17
	v_add_f16_e32 v52, v52, v19
	v_sub_f16_e32 v15, v15, v19
	v_fmamk_f16 v19, v34, 0xbaee, v0
	v_fmac_f16_e32 v0, 0x3aee, v34
	v_add_f16_e32 v34, v13, v77
	v_add_f16_e32 v59, v89, v49
	v_sub_f16_e32 v49, v89, v49
	v_add_f16_e32 v89, v37, v61
	v_sub_f16_e32 v37, v37, v61
	v_add_f16_e32 v18, v12, v18
	v_fmac_f16_e32 v12, -0.5, v56
	v_add_f16_e32 v56, v11, v23
	v_add_f16_e32 v61, v9, v13
	v_fmac_f16_e32 v9, -0.5, v34
	v_sub_f16_e32 v34, v11, v23
	v_add_f16_e32 v17, v18, v17
	v_fmamk_f16 v18, v15, 0x3aee, v12
	v_add_f16_e32 v11, v1, v11
	v_fmac_f16_e32 v1, -0.5, v56
	v_sub_f16_e32 v13, v13, v77
	v_fmac_f16_e32 v12, 0xbaee, v15
	v_fmamk_f16 v15, v34, 0x3aee, v9
	v_fmac_f16_e32 v9, 0xbaee, v34
	v_add_f16_e32 v11, v11, v23
	v_fmamk_f16 v23, v13, 0xbaee, v1
	v_fmac_f16_e32 v1, 0x3aee, v13
	v_mul_f16_e32 v13, 0xbaee, v15
	v_mul_f16_e32 v34, 0xbaee, v9
	v_mul_f16_e32 v9, -0.5, v9
	v_mul_f16_e32 v15, 0.5, v15
	v_add_f16_e32 v56, v61, v77
	v_fmac_f16_e32 v13, 0.5, v23
	v_fmac_f16_e32 v34, -0.5, v1
	v_fmac_f16_e32 v9, 0x3aee, v1
	v_fmac_f16_e32 v15, 0x3aee, v23
	v_pack_b32_f16 v2, v2, v85
	v_add_f16_e32 v1, v19, v13
	v_add_f16_e32 v23, v0, v34
	;; [unrolled: 1-line block ×3, first 2 shown]
	v_sub_f16_e32 v13, v19, v13
	v_sub_f16_e32 v19, v0, v34
	;; [unrolled: 1-line block ×3, first 2 shown]
	v_pack_b32_f16 v0, v94, v100
	v_pack_b32_f16 v12, v57, v101
	v_add_f16_e32 v77, v18, v15
	v_sub_f16_e32 v15, v18, v15
	v_pack_b32_f16 v18, v99, v55
	v_pack_b32_f16 v34, v40, v51
	;; [unrolled: 1-line block ×3, first 2 shown]
	s_barrier
	buffer_gl0_inv
	ds_store_2addr_b32 v62, v0, v12 offset1:60
	ds_store_2addr_b32 v62, v18, v34 offset0:120 offset1:180
	ds_store_2addr_b32 v64, v40, v2 offset0:112 offset1:172
	v_pack_b32_f16 v0, v102, v104
	v_pack_b32_f16 v2, v81, v105
	;; [unrolled: 1-line block ×4, first 2 shown]
	v_add_nc_u32_e32 v34, 0x600, v62
	v_pack_b32_f16 v36, v44, v46
	v_pack_b32_f16 v39, v53, v79
	;; [unrolled: 1-line block ×4, first 2 shown]
	v_add_nc_u32_e32 v44, 0xa00, v5
	v_pack_b32_f16 v46, v48, v93
	v_pack_b32_f16 v22, v22, v42
	v_add_nc_u32_e32 v5, 0xc00, v5
	ds_store_2addr_b32 v67, v0, v2 offset0:104 offset1:164
	ds_store_2addr_b32 v34, v12, v18 offset0:96 offset1:156
	;; [unrolled: 1-line block ×5, first 2 shown]
	v_lshl_add_u32 v0, v7, 2, 0
	v_add_f16_e32 v10, v76, v35
	v_pack_b32_f16 v2, v45, v47
	v_pack_b32_f16 v7, v50, v54
	;; [unrolled: 1-line block ×4, first 2 shown]
	v_add_nc_u32_e32 v22, 0x1000, v0
	v_pack_b32_f16 v34, v91, v86
	v_pack_b32_f16 v20, v41, v20
	;; [unrolled: 1-line block ×4, first 2 shown]
	v_add_nc_u32_e32 v0, 0x1400, v0
	v_sub_f16_e32 v35, v76, v35
	v_pack_b32_f16 v40, v82, v88
	v_pack_b32_f16 v10, v10, v89
	v_add_nc_u32_e32 v41, 0x1400, v6
	v_add_f16_e32 v61, v52, v11
	v_add_f16_e32 v76, v17, v56
	ds_store_2addr_b32 v5, v2, v7 offset0:192 offset1:252
	ds_store_2addr_b32 v22, v12, v18 offset0:56 offset1:116
	;; [unrolled: 1-line block ×5, first 2 shown]
	v_lshl_add_u32 v7, v8, 2, 0
	v_pack_b32_f16 v2, v38, v87
	v_pack_b32_f16 v5, v16, v21
	v_add_nc_u32_e32 v6, 0x1800, v6
	v_pack_b32_f16 v12, v1, v77
	v_mul_i32_i24_e32 v0, 5, v26
	v_mov_b32_e32 v1, 0
	v_pack_b32_f16 v8, v35, v37
	v_pack_b32_f16 v3, v3, v14
	;; [unrolled: 1-line block ×3, first 2 shown]
	v_add_nc_u32_e32 v14, 0x1c00, v7
	ds_store_2addr_b32 v6, v2, v5 offset0:24 offset1:84
	ds_store_2addr_b32 v6, v8, v3 offset0:144 offset1:204
	;; [unrolled: 1-line block ×3, first 2 shown]
	v_lshlrev_b64 v[2:3], 2, v[0:1]
	v_sub_f16_e32 v11, v52, v11
	v_sub_f16_e32 v17, v17, v56
	v_pack_b32_f16 v0, v13, v15
	v_pack_b32_f16 v5, v19, v9
	v_add_nc_u32_e32 v6, 0x1e00, v7
	v_add_co_u32 v2, s0, s4, v2
	v_pack_b32_f16 v16, v23, v106
	v_pack_b32_f16 v11, v11, v17
	v_add_co_ci_u32_e64 v3, s0, s5, v3, s0
	ds_store_2addr_b32 v6, v0, v5 offset0:120 offset1:180
	v_mul_i32_i24_e32 v0, 5, v33
	ds_store_2addr_b32 v14, v16, v11 offset0:128 offset1:188
	s_waitcnt lgkmcnt(0)
	s_barrier
	buffer_gl0_inv
	global_load_b128 v[8:11], v[2:3], off offset:1400
	v_lshlrev_b64 v[5:6], 2, v[0:1]
	v_mul_i32_i24_e32 v0, 5, v32
	s_delay_alu instid0(VALU_DEP_2) | instskip(NEXT) | instid1(VALU_DEP_1)
	v_add_co_u32 v5, s0, s4, v5
	v_add_co_ci_u32_e64 v6, s0, s5, v6, s0
	s_clause 0x1
	global_load_b128 v[12:15], v[5:6], off offset:1400
	global_load_b128 v[16:19], v4, s[4:5] offset:1400
	v_lshlrev_b64 v[20:21], 2, v[0:1]
	v_mul_u32_u24_e32 v0, 5, v73
	s_delay_alu instid0(VALU_DEP_2) | instskip(NEXT) | instid1(VALU_DEP_1)
	v_add_co_u32 v38, s0, s4, v20
	v_add_co_ci_u32_e64 v39, s0, s5, v21, s0
	s_delay_alu instid0(VALU_DEP_3)
	v_lshlrev_b32_e32 v0, 2, v0
	s_clause 0x8
	global_load_b128 v[20:23], v[38:39], off offset:1400
	global_load_b128 v[34:37], v0, s[4:5] offset:1400
	global_load_b32 v77, v[2:3], off offset:1416
	global_load_b32 v78, v[5:6], off offset:1416
	global_load_b32 v79, v4, s[4:5] offset:1416
	global_load_b32 v80, v[38:39], off offset:1416
	global_load_b32 v81, v0, s[4:5] offset:1416
	global_load_b128 v[38:41], v0, s[4:5] offset:2600
	global_load_b32 v82, v0, s[4:5] offset:2616
	ds_load_2addr_b32 v[4:5], v62 offset1:240
	ds_load_2addr_b32 v[42:43], v66 offset0:124 offset1:184
	ds_load_2addr_b32 v[44:45], v25 offset0:100 offset1:160
	;; [unrolled: 1-line block ×3, first 2 shown]
	ds_load_b32 v83, v70
	ds_load_2addr_b32 v[48:49], v67 offset0:164 offset1:224
	ds_load_2addr_b32 v[50:51], v29 offset0:12 offset1:72
	;; [unrolled: 1-line block ×5, first 2 shown]
	ds_load_b32 v84, v71
	ds_load_2addr_b32 v[2:3], v67 offset0:44 offset1:104
	ds_load_2addr_b32 v[58:59], v27 offset0:148 offset1:208
	ds_load_b32 v6, v72
	ds_load_2addr_b32 v[60:61], v27 offset0:28 offset1:88
	ds_load_2addr_b32 v[66:67], v29 offset0:132 offset1:192
	ds_load_2addr_b32 v[68:69], v74 offset0:108 offset1:168
	ds_load_2addr_b32 v[73:74], v63 offset0:84 offset1:144
	ds_load_2addr_b32 v[75:76], v65 offset0:188 offset1:248
	s_waitcnt lgkmcnt(18)
	v_lshrrev_b32_e32 v85, 16, v4
	s_waitcnt lgkmcnt(17)
	v_lshrrev_b32_e32 v0, 16, v43
	;; [unrolled: 2-line block ×9, first 2 shown]
	v_lshrrev_b32_e32 v94, 16, v49
	v_lshrrev_b32_e32 v96, 16, v53
	;; [unrolled: 1-line block ×4, first 2 shown]
	s_waitcnt lgkmcnt(4)
	v_lshrrev_b32_e32 v101, 16, v60
	v_lshrrev_b32_e32 v92, 16, v56
	;; [unrolled: 1-line block ×5, first 2 shown]
	s_waitcnt vmcnt(11)
	v_lshrrev_b32_e32 v100, 16, v9
	v_lshrrev_b32_e32 v99, 16, v8
	;; [unrolled: 1-line block ×4, first 2 shown]
	s_delay_alu instid0(VALU_DEP_4) | instskip(NEXT) | instid1(VALU_DEP_4)
	v_mul_f16_e32 v104, v89, v100
	v_mul_f16_e32 v103, v88, v99
	;; [unrolled: 1-line block ×4, first 2 shown]
	s_delay_alu instid0(VALU_DEP_4)
	v_fmac_f16_e32 v104, v50, v9
	v_mul_f16_e32 v50, v90, v102
	v_fmac_f16_e32 v103, v48, v8
	v_fma_f16 v48, v88, v8, -v99
	v_fma_f16 v88, v89, v9, -v100
	v_mul_f16_e32 v8, v52, v102
	v_mul_f16_e32 v89, v91, v105
	;; [unrolled: 1-line block ×3, first 2 shown]
	v_fmac_f16_e32 v50, v52, v10
	s_waitcnt vmcnt(10)
	v_lshrrev_b32_e32 v52, 16, v12
	v_fma_f16 v90, v90, v10, -v8
	v_fmac_f16_e32 v89, v54, v11
	v_fma_f16 v11, v91, v11, -v9
	v_lshrrev_b32_e32 v91, 16, v14
	v_mul_f16_e32 v54, v94, v52
	v_lshrrev_b32_e32 v8, 16, v13
	s_waitcnt lgkmcnt(3)
	v_lshrrev_b32_e32 v9, 16, v66
	s_waitcnt lgkmcnt(2)
	v_lshrrev_b32_e32 v10, 16, v68
	v_mul_f16_e32 v100, v96, v91
	v_fmac_f16_e32 v54, v49, v12
	v_mul_f16_e32 v49, v49, v52
	v_lshrrev_b32_e32 v52, 16, v15
	v_mul_f16_e32 v99, v95, v8
	v_mul_f16_e32 v8, v51, v8
	v_fmac_f16_e32 v100, v53, v14
	v_mul_f16_e32 v53, v53, v91
	v_mul_f16_e32 v102, v97, v52
	;; [unrolled: 1-line block ×3, first 2 shown]
	v_fmac_f16_e32 v99, v51, v13
	v_fma_f16 v12, v94, v12, -v49
	s_waitcnt vmcnt(9)
	v_lshrrev_b32_e32 v49, 16, v16
	v_fmac_f16_e32 v102, v55, v15
	v_fma_f16 v13, v95, v13, -v8
	v_lshrrev_b32_e32 v8, 16, v3
	v_fma_f16 v14, v96, v14, -v53
	v_lshrrev_b32_e32 v53, 16, v17
	v_fma_f16 v15, v97, v15, -v52
	v_lshrrev_b32_e32 v52, 16, v59
	v_lshrrev_b32_e32 v94, 16, v18
	v_mul_f16_e32 v95, v49, v8
	v_mul_f16_e32 v49, v49, v3
	v_lshrrev_b32_e32 v96, 16, v19
	v_mul_f16_e32 v97, v53, v52
	v_mul_f16_e32 v53, v53, v59
	v_fmac_f16_e32 v95, v16, v3
	v_fma_f16 v16, v16, v8, -v49
	v_mul_f16_e32 v3, v43, v94
	v_fmac_f16_e32 v97, v17, v59
	v_fma_f16 v17, v17, v52, -v53
	v_mul_f16_e32 v49, v0, v94
	v_mul_f16_e32 v8, v45, v96
	;; [unrolled: 1-line block ×3, first 2 shown]
	v_fma_f16 v52, v0, v18, -v3
	s_waitcnt vmcnt(8)
	v_lshrrev_b32_e32 v0, 16, v20
	v_fmac_f16_e32 v49, v43, v18
	v_fma_f16 v18, v65, v19, -v8
	v_fmac_f16_e32 v53, v45, v19
	v_lshrrev_b32_e32 v19, 16, v22
	v_lshrrev_b32_e32 v3, 16, v21
	v_mul_f16_e32 v8, v60, v0
	v_mul_f16_e32 v59, v101, v0
	v_lshrrev_b32_e32 v105, 16, v61
	v_mul_f16_e32 v0, v68, v19
	v_lshrrev_b32_e32 v43, 16, v23
	v_mul_f16_e32 v45, v66, v3
	v_mul_f16_e32 v94, v9, v3
	;; [unrolled: 1-line block ×3, first 2 shown]
	v_fma_f16 v96, v10, v22, -v0
	s_waitcnt vmcnt(7)
	v_lshrrev_b32_e32 v0, 16, v34
	s_waitcnt lgkmcnt(1)
	v_lshrrev_b32_e32 v51, 16, v73
	v_fma_f16 v65, v101, v20, -v8
	v_fma_f16 v45, v9, v21, -v45
	v_mul_f16_e32 v3, v73, v43
	v_lshrrev_b32_e32 v8, 16, v69
	v_fmac_f16_e32 v94, v66, v21
	v_fmac_f16_e32 v19, v68, v22
	v_mul_f16_e32 v10, v105, v0
	v_lshrrev_b32_e32 v21, 16, v36
	v_mul_f16_e32 v22, v61, v0
	v_lshrrev_b32_e32 v55, 16, v67
	v_mul_f16_e32 v43, v51, v43
	v_fma_f16 v51, v51, v23, -v3
	v_lshrrev_b32_e32 v3, 16, v35
	v_fmac_f16_e32 v10, v61, v34
	v_mul_f16_e32 v61, v8, v21
	v_mul_f16_e32 v21, v69, v21
	v_fma_f16 v22, v105, v34, -v22
	s_waitcnt vmcnt(6)
	v_lshrrev_b32_e32 v34, 16, v77
	v_fmac_f16_e32 v59, v60, v20
	v_fmac_f16_e32 v43, v73, v23
	v_lshrrev_b32_e32 v20, 16, v74
	v_mul_f16_e32 v23, v55, v3
	v_mul_f16_e32 v3, v67, v3
	v_lshrrev_b32_e32 v60, 16, v37
	v_fmac_f16_e32 v61, v69, v36
	v_fma_f16 v21, v8, v36, -v21
	v_mul_f16_e32 v8, v56, v34
	s_waitcnt vmcnt(4)
	v_lshrrev_b32_e32 v36, 16, v79
	v_fmac_f16_e32 v23, v67, v35
	v_mul_f16_e32 v66, v20, v60
	v_mul_f16_e32 v60, v74, v60
	v_fma_f16 v35, v55, v35, -v3
	v_lshrrev_b32_e32 v3, 16, v78
	v_mul_f16_e32 v34, v92, v34
	v_fma_f16 v73, v92, v77, -v8
	v_mul_f16_e32 v8, v47, v36
	s_waitcnt lgkmcnt(0)
	v_lshrrev_b32_e32 v91, 16, v75
	v_lshrrev_b32_e32 v67, 16, v76
	v_fmac_f16_e32 v66, v74, v37
	v_fma_f16 v20, v20, v37, -v60
	v_mul_f16_e32 v60, v98, v3
	v_mul_f16_e32 v74, v86, v36
	v_fmac_f16_e32 v34, v56, v77
	s_waitcnt vmcnt(3)
	v_lshrrev_b32_e32 v36, 16, v80
	v_mul_f16_e32 v3, v57, v3
	v_fma_f16 v77, v86, v79, -v8
	s_waitcnt vmcnt(2)
	v_lshrrev_b32_e32 v8, 16, v81
	v_lshrrev_b32_e32 v68, 16, v58
	ds_load_b32 v69, v62 offset:8400
	v_fmac_f16_e32 v60, v57, v78
	v_mul_f16_e32 v86, v91, v36
	v_fmac_f16_e32 v74, v47, v79
	v_fma_f16 v47, v98, v78, -v3
	v_mul_f16_e32 v78, v67, v8
	v_mul_f16_e32 v3, v76, v8
	s_waitcnt vmcnt(1)
	v_lshrrev_b32_e32 v8, 16, v38
	v_lshrrev_b32_e32 v55, 16, v42
	;; [unrolled: 1-line block ×3, first 2 shown]
	v_mul_f16_e32 v36, v75, v36
	v_fmac_f16_e32 v86, v75, v80
	v_fmac_f16_e32 v78, v76, v81
	v_lshrrev_b32_e32 v75, 16, v39
	v_fma_f16 v67, v67, v81, -v3
	v_lshrrev_b32_e32 v76, 16, v40
	v_mul_f16_e32 v3, v68, v8
	v_mul_f16_e32 v8, v58, v8
	v_lshrrev_b32_e32 v56, 16, v46
	v_fma_f16 v36, v91, v80, -v36
	v_mul_f16_e32 v79, v55, v75
	v_lshrrev_b32_e32 v80, 16, v41
	v_fmac_f16_e32 v3, v58, v38
	v_fma_f16 v8, v68, v38, -v8
	v_mul_f16_e32 v38, v37, v76
	v_mul_f16_e32 v75, v42, v75
	v_fmac_f16_e32 v79, v42, v39
	v_mul_f16_e32 v42, v44, v76
	v_mul_f16_e32 v58, v56, v80
	v_fmac_f16_e32 v38, v44, v40
	v_mul_f16_e32 v44, v46, v80
	s_waitcnt lgkmcnt(0)
	v_lshrrev_b32_e32 v57, 16, v69
	v_fma_f16 v39, v55, v39, -v75
	s_waitcnt vmcnt(0)
	v_lshrrev_b32_e32 v55, 16, v82
	v_fmac_f16_e32 v58, v46, v41
	v_fma_f16 v41, v56, v41, -v44
	v_add_f16_e32 v44, v97, v53
	v_fma_f16 v37, v37, v40, -v42
	v_mul_f16_e32 v40, v57, v55
	v_mul_f16_e32 v42, v69, v55
	v_add_f16_e32 v46, v4, v97
	v_add_f16_e32 v55, v17, v18
	v_fma_f16 v4, -0.5, v44, v4
	v_sub_f16_e32 v44, v17, v18
	v_add_f16_e32 v17, v85, v17
	v_fma_f16 v42, v57, v82, -v42
	v_fmac_f16_e32 v85, -0.5, v55
	v_add_f16_e32 v46, v46, v53
	v_fmamk_f16 v55, v44, 0xbaee, v4
	v_fmac_f16_e32 v4, 0x3aee, v44
	v_add_f16_e32 v44, v52, v77
	v_sub_f16_e32 v53, v97, v53
	v_add_f16_e32 v56, v49, v74
	v_add_f16_e32 v57, v16, v52
	;; [unrolled: 1-line block ×3, first 2 shown]
	v_fmac_f16_e32 v16, -0.5, v44
	v_sub_f16_e32 v44, v49, v74
	v_fmamk_f16 v18, v53, 0x3aee, v85
	v_add_f16_e32 v49, v95, v49
	v_fmac_f16_e32 v95, -0.5, v56
	v_sub_f16_e32 v52, v52, v77
	v_fmac_f16_e32 v85, 0xbaee, v53
	v_fmamk_f16 v53, v44, 0x3aee, v16
	v_fmac_f16_e32 v16, 0xbaee, v44
	v_add_f16_e32 v44, v49, v74
	v_fmamk_f16 v49, v52, 0xbaee, v95
	v_fmac_f16_e32 v95, 0x3aee, v52
	v_mul_f16_e32 v52, 0xbaee, v53
	v_mul_f16_e32 v53, 0.5, v53
	v_add_f16_e32 v68, v46, v44
	v_sub_f16_e32 v44, v46, v44
	v_mul_f16_e32 v56, 0xbaee, v16
	v_fmac_f16_e32 v52, 0.5, v49
	v_fmac_f16_e32 v53, 0x3aee, v49
	v_add_f16_e32 v57, v57, v77
	v_fmac_f16_e32 v40, v69, v82
	v_fmac_f16_e32 v56, -0.5, v95
	v_add_f16_e32 v49, v55, v52
	v_sub_f16_e32 v46, v55, v52
	v_add_f16_e32 v52, v104, v89
	v_add_f16_e32 v75, v18, v53
	v_sub_f16_e32 v18, v18, v53
	v_add_f16_e32 v53, v83, v104
	v_add_f16_e32 v74, v17, v57
	v_fmac_f16_e32 v83, -0.5, v52
	v_sub_f16_e32 v52, v88, v11
	v_sub_f16_e32 v17, v17, v57
	v_add_f16_e32 v55, v88, v11
	v_add_f16_e32 v69, v4, v56
	v_sub_f16_e32 v4, v4, v56
	v_fmamk_f16 v57, v52, 0xbaee, v83
	v_fmac_f16_e32 v83, 0x3aee, v52
	v_add_f16_e32 v52, v90, v73
	v_add_f16_e32 v56, v87, v88
	v_fmac_f16_e32 v87, -0.5, v55
	v_sub_f16_e32 v55, v104, v89
	v_add_f16_e32 v77, v50, v34
	v_add_f16_e32 v80, v48, v90
	v_fmac_f16_e32 v48, -0.5, v52
	v_sub_f16_e32 v52, v50, v34
	v_add_f16_e32 v11, v56, v11
	v_fmamk_f16 v56, v55, 0x3aee, v87
	v_add_f16_e32 v50, v103, v50
	v_fmac_f16_e32 v103, -0.5, v77
	v_sub_f16_e32 v77, v90, v73
	v_fmac_f16_e32 v87, 0xbaee, v55
	v_fmamk_f16 v55, v52, 0x3aee, v48
	v_fmac_f16_e32 v48, 0xbaee, v52
	v_add_f16_e32 v34, v50, v34
	v_fmamk_f16 v50, v77, 0xbaee, v103
	v_mul_f16_e32 v16, -0.5, v16
	v_mul_f16_e32 v52, 0xbaee, v55
	v_mul_f16_e32 v55, 0.5, v55
	v_fmac_f16_e32 v103, 0x3aee, v77
	v_mul_f16_e32 v77, 0xbaee, v48
	v_fmac_f16_e32 v16, 0x3aee, v95
	v_fmac_f16_e32 v52, 0.5, v50
	v_fmac_f16_e32 v55, 0x3aee, v50
	v_add_f16_e32 v53, v53, v89
	v_add_f16_e32 v73, v80, v73
	;; [unrolled: 1-line block ×4, first 2 shown]
	v_sub_f16_e32 v52, v57, v52
	v_add_f16_e32 v57, v99, v102
	v_sub_f16_e32 v16, v85, v16
	v_mul_f16_e32 v48, -0.5, v48
	v_fmac_f16_e32 v77, -0.5, v103
	v_add_f16_e32 v85, v56, v55
	v_sub_f16_e32 v55, v56, v55
	v_add_f16_e32 v56, v84, v99
	v_fmac_f16_e32 v84, -0.5, v57
	v_sub_f16_e32 v57, v13, v15
	v_add_f16_e32 v80, v53, v34
	v_fmac_f16_e32 v48, 0x3aee, v103
	v_add_f16_e32 v81, v83, v77
	v_add_f16_e32 v82, v11, v73
	v_sub_f16_e32 v34, v53, v34
	v_sub_f16_e32 v53, v83, v77
	;; [unrolled: 1-line block ×3, first 2 shown]
	v_add_f16_e32 v73, v13, v15
	v_fmamk_f16 v77, v57, 0xbaee, v84
	v_fmac_f16_e32 v84, 0x3aee, v57
	v_add_f16_e32 v57, v14, v47
	v_add_f16_e32 v88, v87, v48
	v_sub_f16_e32 v48, v87, v48
	v_add_f16_e32 v13, v93, v13
	v_fmac_f16_e32 v93, -0.5, v73
	v_sub_f16_e32 v73, v99, v102
	v_add_f16_e32 v83, v100, v60
	v_add_f16_e32 v87, v12, v14
	v_fmac_f16_e32 v12, -0.5, v57
	v_sub_f16_e32 v57, v100, v60
	v_add_f16_e32 v13, v13, v15
	v_fmamk_f16 v15, v73, 0x3aee, v93
	v_add_f16_e32 v89, v54, v100
	v_fmac_f16_e32 v54, -0.5, v83
	v_sub_f16_e32 v14, v14, v47
	v_fmac_f16_e32 v93, 0xbaee, v73
	v_fmamk_f16 v73, v57, 0x3aee, v12
	v_fmac_f16_e32 v12, 0xbaee, v57
	v_add_f16_e32 v57, v89, v60
	v_fmamk_f16 v60, v14, 0xbaee, v54
	v_fmac_f16_e32 v54, 0x3aee, v14
	v_mul_f16_e32 v14, 0xbaee, v73
	v_add_f16_e32 v47, v87, v47
	v_mul_f16_e32 v73, 0.5, v73
	v_mul_f16_e32 v83, 0xbaee, v12
	v_mul_f16_e32 v12, -0.5, v12
	v_fmac_f16_e32 v14, 0.5, v60
	v_add_f16_e32 v89, v13, v47
	v_fmac_f16_e32 v73, 0x3aee, v60
	v_sub_f16_e32 v13, v13, v47
	v_add_f16_e32 v47, v94, v43
	v_fmac_f16_e32 v83, -0.5, v54
	v_fmac_f16_e32 v12, 0x3aee, v54
	v_add_f16_e32 v54, v77, v14
	v_add_f16_e32 v90, v15, v73
	v_sub_f16_e32 v14, v77, v14
	v_sub_f16_e32 v15, v15, v73
	v_add_f16_e32 v73, v6, v94
	v_add_f16_e32 v77, v45, v51
	v_fmac_f16_e32 v6, -0.5, v47
	v_sub_f16_e32 v47, v45, v51
	v_add_f16_e32 v56, v56, v102
	v_add_f16_e32 v45, v7, v45
	v_fmac_f16_e32 v7, -0.5, v77
	v_add_f16_e32 v60, v84, v83
	v_fmamk_f16 v77, v47, 0xbaee, v6
	v_fmac_f16_e32 v6, 0x3aee, v47
	v_add_f16_e32 v47, v96, v36
	v_add_f16_e32 v87, v56, v57
	v_sub_f16_e32 v56, v56, v57
	v_sub_f16_e32 v57, v84, v83
	v_add_f16_e32 v73, v73, v43
	v_sub_f16_e32 v43, v94, v43
	v_add_f16_e32 v83, v19, v86
	v_add_f16_e32 v84, v65, v96
	v_fmac_f16_e32 v65, -0.5, v47
	v_sub_f16_e32 v47, v19, v86
	v_add_f16_e32 v45, v45, v51
	v_fmamk_f16 v51, v43, 0x3aee, v7
	v_add_f16_e32 v19, v59, v19
	v_fmac_f16_e32 v59, -0.5, v83
	v_sub_f16_e32 v83, v96, v36
	v_fmac_f16_e32 v7, 0xbaee, v43
	v_fmamk_f16 v43, v47, 0x3aee, v65
	v_fmac_f16_e32 v65, 0xbaee, v47
	v_add_f16_e32 v19, v19, v86
	v_fmamk_f16 v47, v83, 0xbaee, v59
	v_fmac_f16_e32 v59, 0x3aee, v83
	v_mul_f16_e32 v83, 0xbaee, v43
	v_mul_f16_e32 v86, 0xbaee, v65
	v_add_f16_e32 v36, v84, v36
	v_mul_f16_e32 v43, 0.5, v43
	v_mul_f16_e32 v65, -0.5, v65
	v_lshrrev_b32_e32 v9, 16, v5
	v_add_f16_e32 v91, v93, v12
	v_add_f16_e32 v92, v45, v36
	v_fmac_f16_e32 v43, 0x3aee, v47
	v_fmac_f16_e32 v65, 0x3aee, v59
	v_sub_f16_e32 v36, v45, v36
	v_add_f16_e32 v45, v23, v66
	v_sub_f16_e32 v12, v93, v12
	v_add_f16_e32 v93, v51, v43
	v_add_f16_e32 v94, v7, v65
	v_sub_f16_e32 v43, v51, v43
	v_add_f16_e32 v51, v5, v23
	v_sub_f16_e32 v7, v7, v65
	v_add_f16_e32 v65, v35, v20
	v_fmac_f16_e32 v5, -0.5, v45
	v_sub_f16_e32 v45, v35, v20
	v_fmac_f16_e32 v83, 0.5, v47
	v_add_f16_e32 v35, v9, v35
	v_fmac_f16_e32 v9, -0.5, v65
	v_add_f16_e32 v84, v73, v19
	v_fmamk_f16 v65, v45, 0xbaee, v5
	v_fmac_f16_e32 v5, 0x3aee, v45
	v_add_f16_e32 v45, v21, v67
	v_add_f16_e32 v47, v77, v83
	v_sub_f16_e32 v19, v73, v19
	v_sub_f16_e32 v73, v77, v83
	v_add_f16_e32 v51, v51, v66
	v_sub_f16_e32 v23, v23, v66
	v_add_f16_e32 v66, v61, v78
	v_add_f16_e32 v77, v22, v21
	v_fmac_f16_e32 v22, -0.5, v45
	v_sub_f16_e32 v45, v61, v78
	v_add_f16_e32 v20, v35, v20
	v_fmamk_f16 v35, v23, 0x3aee, v9
	v_add_f16_e32 v61, v10, v61
	v_fmac_f16_e32 v10, -0.5, v66
	v_sub_f16_e32 v21, v21, v67
	v_fmac_f16_e32 v9, 0xbaee, v23
	v_fmamk_f16 v23, v45, 0x3aee, v22
	v_fmac_f16_e32 v22, 0xbaee, v45
	v_add_f16_e32 v45, v61, v78
	v_fmamk_f16 v61, v21, 0xbaee, v10
	v_fmac_f16_e32 v10, 0x3aee, v21
	v_mul_f16_e32 v21, 0xbaee, v23
	v_mul_f16_e32 v66, 0xbaee, v22
	v_mul_f16_e32 v23, 0.5, v23
	v_mul_f16_e32 v22, -0.5, v22
	v_fmac_f16_e32 v86, -0.5, v59
	v_add_f16_e32 v67, v77, v67
	v_add_f16_e32 v77, v51, v45
	v_fmac_f16_e32 v23, 0x3aee, v61
	v_fmac_f16_e32 v22, 0x3aee, v10
	v_sub_f16_e32 v45, v51, v45
	v_add_f16_e32 v51, v79, v58
	v_lshrrev_b32_e32 v0, 16, v2
	v_add_f16_e32 v59, v6, v86
	v_sub_f16_e32 v6, v6, v86
	v_add_f16_e32 v83, v35, v23
	v_add_f16_e32 v86, v9, v22
	v_sub_f16_e32 v23, v35, v23
	v_add_f16_e32 v35, v2, v79
	v_sub_f16_e32 v9, v9, v22
	v_add_f16_e32 v22, v39, v41
	v_fmac_f16_e32 v2, -0.5, v51
	v_sub_f16_e32 v51, v39, v41
	v_fmac_f16_e32 v21, 0.5, v61
	v_fmac_f16_e32 v66, -0.5, v10
	v_add_f16_e32 v35, v35, v58
	v_add_f16_e32 v39, v0, v39
	v_fmac_f16_e32 v0, -0.5, v22
	v_sub_f16_e32 v22, v79, v58
	v_fmamk_f16 v58, v51, 0xbaee, v2
	v_fmac_f16_e32 v2, 0x3aee, v51
	v_add_f16_e32 v51, v37, v42
	v_add_f16_e32 v10, v65, v21
	;; [unrolled: 1-line block ×3, first 2 shown]
	v_sub_f16_e32 v21, v65, v21
	v_sub_f16_e32 v5, v5, v66
	v_add_f16_e32 v65, v38, v40
	v_add_f16_e32 v66, v8, v37
	v_fmac_f16_e32 v8, -0.5, v51
	v_sub_f16_e32 v51, v38, v40
	v_add_f16_e32 v39, v39, v41
	v_fmamk_f16 v41, v22, 0x3aee, v0
	v_add_f16_e32 v38, v3, v38
	v_fmac_f16_e32 v3, -0.5, v65
	v_sub_f16_e32 v37, v37, v42
	v_fmac_f16_e32 v0, 0xbaee, v22
	v_fmamk_f16 v22, v51, 0x3aee, v8
	v_fmac_f16_e32 v8, 0xbaee, v51
	v_add_f16_e32 v38, v38, v40
	v_fmamk_f16 v40, v37, 0xbaee, v3
	v_fmac_f16_e32 v3, 0x3aee, v37
	v_mul_f16_e32 v37, 0xbaee, v22
	v_mul_f16_e32 v51, 0xbaee, v8
	v_mul_f16_e32 v8, -0.5, v8
	v_mul_f16_e32 v22, 0.5, v22
	v_add_f16_e32 v42, v66, v42
	v_add_f16_e32 v65, v35, v38
	v_sub_f16_e32 v35, v35, v38
	v_fmac_f16_e32 v8, 0x3aee, v3
	v_fmac_f16_e32 v22, 0x3aee, v40
	v_add_f16_e32 v66, v39, v42
	v_sub_f16_e32 v38, v39, v42
	v_pack_b32_f16 v39, v49, v75
	v_add_f16_e32 v79, v0, v8
	v_sub_f16_e32 v0, v0, v8
	v_pack_b32_f16 v8, v68, v74
	v_add_f16_e32 v78, v20, v67
	v_sub_f16_e32 v20, v20, v67
	v_add_f16_e32 v67, v41, v22
	v_sub_f16_e32 v22, v41, v22
	v_pack_b32_f16 v41, v69, v76
	v_pack_b32_f16 v17, v44, v17
	;; [unrolled: 1-line block ×4, first 2 shown]
	s_barrier
	buffer_gl0_inv
	ds_store_b32 v62, v8
	ds_store_b32 v62, v39 offset:1440
	ds_store_b32 v62, v41 offset:2880
	;; [unrolled: 1-line block ×5, first 2 shown]
	v_pack_b32_f16 v4, v80, v82
	v_pack_b32_f16 v8, v50, v85
	;; [unrolled: 1-line block ×6, first 2 shown]
	ds_store_b32 v70, v4
	ds_store_b32 v70, v8 offset:1440
	ds_store_b32 v70, v16 offset:2880
	;; [unrolled: 1-line block ×5, first 2 shown]
	v_pack_b32_f16 v4, v87, v89
	v_pack_b32_f16 v8, v54, v90
	;; [unrolled: 1-line block ×4, first 2 shown]
	v_fmac_f16_e32 v37, 0.5, v40
	v_pack_b32_f16 v14, v14, v15
	v_fmac_f16_e32 v51, -0.5, v3
	v_pack_b32_f16 v12, v57, v12
	ds_store_b32 v71, v4
	ds_store_b32 v71, v8 offset:1440
	ds_store_b32 v71, v11 offset:2880
	;; [unrolled: 1-line block ×5, first 2 shown]
	v_pack_b32_f16 v4, v84, v92
	v_pack_b32_f16 v8, v47, v93
	;; [unrolled: 1-line block ×4, first 2 shown]
	v_add_f16_e32 v3, v58, v37
	v_pack_b32_f16 v13, v73, v43
	v_add_f16_e32 v40, v2, v51
	v_pack_b32_f16 v6, v6, v7
	ds_store_b32 v72, v4
	ds_store_b32 v72, v8 offset:1440
	ds_store_b32 v72, v11 offset:2880
	;; [unrolled: 1-line block ×5, first 2 shown]
	v_pack_b32_f16 v4, v77, v78
	v_pack_b32_f16 v7, v65, v66
	v_sub_f16_e32 v37, v58, v37
	v_sub_f16_e32 v2, v2, v51
	v_pack_b32_f16 v6, v10, v83
	v_pack_b32_f16 v3, v3, v67
	;; [unrolled: 1-line block ×3, first 2 shown]
	ds_store_2addr_b32 v64, v4, v7 offset0:112 offset1:172
	v_pack_b32_f16 v4, v40, v79
	v_pack_b32_f16 v10, v45, v20
	v_pack_b32_f16 v7, v35, v38
	v_pack_b32_f16 v11, v21, v23
	v_pack_b32_f16 v5, v5, v9
	v_pack_b32_f16 v9, v37, v22
	v_pack_b32_f16 v0, v2, v0
	v_add_nc_u32_e32 v2, 0x1e00, v62
	ds_store_2addr_b32 v27, v6, v3 offset0:88 offset1:148
	ds_store_2addr_b32 v29, v8, v4 offset0:192 offset1:252
	;; [unrolled: 1-line block ×5, first 2 shown]
	s_waitcnt lgkmcnt(0)
	s_barrier
	buffer_gl0_inv
	ds_load_b32 v0, v62
	v_lshlrev_b32_e32 v2, 2, v24
                                        ; implicit-def: $vgpr7
                                        ; implicit-def: $vgpr6
                                        ; implicit-def: $vgpr5
	s_delay_alu instid0(VALU_DEP_1)
	v_sub_nc_u32_e32 v4, 0, v2
                                        ; implicit-def: $vgpr2_vgpr3
	s_waitcnt lgkmcnt(0)
	v_lshrrev_b32_e32 v8, 16, v0
	v_cmpx_ne_u32_e32 0, v24
	s_xor_b32 s3, exec_lo, s3
	s_cbranch_execz .LBB0_17
; %bb.16:
	v_mov_b32_e32 v25, v1
	s_delay_alu instid0(VALU_DEP_1) | instskip(NEXT) | instid1(VALU_DEP_1)
	v_lshlrev_b64 v[1:2], 2, v[24:25]
	v_add_co_u32 v1, s0, s1, v1
	s_delay_alu instid0(VALU_DEP_1)
	v_add_co_ci_u32_e64 v2, s0, s2, v2, s0
	global_load_b32 v1, v[1:2], off
	ds_load_b32 v2, v4 offset:8640
	s_waitcnt lgkmcnt(0)
	v_lshrrev_b32_e32 v3, 16, v2
	v_sub_f16_e32 v5, v0, v2
	v_add_f16_e32 v0, v2, v0
	s_delay_alu instid0(VALU_DEP_3) | instskip(NEXT) | instid1(VALU_DEP_3)
	v_add_f16_e32 v6, v3, v8
	v_mul_f16_e32 v7, 0.5, v5
	v_sub_f16_e32 v3, v8, v3
	s_delay_alu instid0(VALU_DEP_3) | instskip(NEXT) | instid1(VALU_DEP_2)
	v_mul_f16_e32 v2, 0.5, v6
	v_mul_f16_e32 v3, 0.5, v3
	s_waitcnt vmcnt(0)
	v_lshrrev_b32_e32 v5, 16, v1
	s_delay_alu instid0(VALU_DEP_1) | instskip(NEXT) | instid1(VALU_DEP_3)
	v_mul_f16_e32 v6, v5, v7
	v_fma_f16 v8, v2, v5, v3
	v_fma_f16 v3, v2, v5, -v3
	s_delay_alu instid0(VALU_DEP_3) | instskip(SKIP_1) | instid1(VALU_DEP_4)
	v_fma_f16 v9, 0.5, v0, v6
	v_fma_f16 v0, v0, 0.5, -v6
	v_fma_f16 v5, -v1, v7, v8
	s_delay_alu instid0(VALU_DEP_4) | instskip(NEXT) | instid1(VALU_DEP_4)
	v_fma_f16 v7, -v1, v7, v3
                                        ; implicit-def: $vgpr8
	v_fmac_f16_e32 v9, v1, v2
	s_delay_alu instid0(VALU_DEP_4)
	v_fma_f16 v6, -v1, v2, v0
	v_dual_mov_b32 v2, v24 :: v_dual_mov_b32 v3, v25
                                        ; implicit-def: $vgpr0
	ds_store_b16 v62, v9
.LBB0_17:
	s_and_not1_saveexec_b32 s0, s3
	s_cbranch_execz .LBB0_19
; %bb.18:
	v_dual_mov_b32 v5, 0 :: v_dual_mov_b32 v2, 0
	v_add_f16_e32 v9, v8, v0
	v_sub_f16_e32 v6, v0, v8
	v_mov_b32_e32 v3, 0
	ds_load_u16 v1, v5 offset:4322
	v_mov_b32_e32 v7, 0
	s_waitcnt lgkmcnt(0)
	v_xor_b32_e32 v0, 0x8000, v1
	ds_store_b16 v62, v9
	ds_store_b16 v5, v0 offset:4322
.LBB0_19:
	s_or_b32 exec_lo, exec_lo, s0
	v_mov_b32_e32 v27, 0
	v_perm_b32 v6, v7, v6, 0x5040100
	s_delay_alu instid0(VALU_DEP_2) | instskip(SKIP_1) | instid1(VALU_DEP_2)
	v_lshlrev_b64 v[0:1], 2, v[26:27]
	v_mov_b32_e32 v34, v27
	v_add_co_u32 v0, s0, s1, v0
	s_delay_alu instid0(VALU_DEP_1) | instskip(SKIP_3) | instid1(VALU_DEP_2)
	v_add_co_ci_u32_e64 v1, s0, s2, v1, s0
	global_load_b32 v8, v[0:1], off
	v_lshlrev_b64 v[0:1], 2, v[33:34]
	v_mov_b32_e32 v33, v27
	v_add_co_u32 v0, s0, s1, v0
	s_delay_alu instid0(VALU_DEP_1) | instskip(SKIP_2) | instid1(VALU_DEP_1)
	v_add_co_ci_u32_e64 v1, s0, s2, v1, s0
	global_load_b32 v9, v[0:1], off
	v_lshlrev_b64 v[0:1], 2, v[32:33]
	v_add_co_u32 v0, s0, s1, v0
	s_delay_alu instid0(VALU_DEP_1) | instskip(SKIP_2) | instid1(VALU_DEP_1)
	v_add_co_ci_u32_e64 v1, s0, s2, v1, s0
	global_load_b32 v10, v[0:1], off
	v_lshlrev_b64 v[0:1], 2, v[2:3]
	v_add_co_u32 v2, s0, s1, v0
	s_delay_alu instid0(VALU_DEP_1)
	v_add_co_ci_u32_e64 v3, s0, s2, v1, s0
	s_clause 0x1
	global_load_b32 v11, v[2:3], off offset:960
	global_load_b32 v12, v[2:3], off offset:1200
	ds_store_b16 v62, v5 offset:2
	ds_store_b32 v4, v6 offset:8640
	ds_load_b32 v5, v70
	ds_load_b32 v6, v4 offset:8400
	global_load_b32 v7, v[2:3], off offset:1440
	s_waitcnt lgkmcnt(0)
	v_pk_add_f16 v13, v5, v6 neg_lo:[0,1] neg_hi:[0,1]
	v_pk_add_f16 v5, v5, v6
	s_delay_alu instid0(VALU_DEP_1)
	v_bfi_b32 v6, 0xffff, v13, v5
	v_bfi_b32 v5, 0xffff, v5, v13
	s_clause 0x1
	global_load_b32 v13, v[2:3], off offset:1680
	global_load_b32 v14, v[2:3], off offset:1920
	v_pk_mul_f16 v6, v6, 0.5 op_sel_hi:[1,0]
	v_pk_mul_f16 v5, v5, 0.5 op_sel_hi:[1,0]
	s_waitcnt vmcnt(7)
	s_delay_alu instid0(VALU_DEP_1) | instskip(SKIP_3) | instid1(VALU_DEP_3)
	v_pk_fma_f16 v15, v8, v6, v5 op_sel:[1,0,0]
	v_pk_mul_f16 v16, v8, v6 op_sel_hi:[0,1]
	v_pk_fma_f16 v17, v8, v6, v5 op_sel:[1,0,0] neg_lo:[1,0,0] neg_hi:[1,0,0]
	v_pk_fma_f16 v5, v8, v6, v5 op_sel:[1,0,0] neg_lo:[0,0,1] neg_hi:[0,0,1]
	v_pk_add_f16 v6, v15, v16 op_sel:[0,1] op_sel_hi:[1,0]
	v_pk_add_f16 v8, v15, v16 op_sel:[0,1] op_sel_hi:[1,0] neg_lo:[0,1] neg_hi:[0,1]
	s_delay_alu instid0(VALU_DEP_4) | instskip(NEXT) | instid1(VALU_DEP_4)
	v_pk_add_f16 v15, v17, v16 op_sel:[0,1] op_sel_hi:[1,0] neg_lo:[0,1] neg_hi:[0,1]
	v_pk_add_f16 v5, v5, v16 op_sel:[0,1] op_sel_hi:[1,0] neg_lo:[0,1] neg_hi:[0,1]
	s_delay_alu instid0(VALU_DEP_3) | instskip(NEXT) | instid1(VALU_DEP_2)
	v_bfi_b32 v6, 0xffff, v6, v8
	v_bfi_b32 v5, 0xffff, v15, v5
	ds_store_b32 v70, v6
	ds_store_b32 v4, v5 offset:8400
	ds_load_b32 v5, v71
	ds_load_b32 v6, v4 offset:8160
	s_waitcnt lgkmcnt(0)
	v_pk_add_f16 v8, v5, v6 neg_lo:[0,1] neg_hi:[0,1]
	v_pk_add_f16 v5, v5, v6
	s_delay_alu instid0(VALU_DEP_1) | instskip(SKIP_1) | instid1(VALU_DEP_2)
	v_bfi_b32 v6, 0xffff, v8, v5
	v_bfi_b32 v5, 0xffff, v5, v8
	v_pk_mul_f16 v6, v6, 0.5 op_sel_hi:[1,0]
	s_delay_alu instid0(VALU_DEP_2) | instskip(SKIP_1) | instid1(VALU_DEP_2)
	v_pk_mul_f16 v5, v5, 0.5 op_sel_hi:[1,0]
	s_waitcnt vmcnt(6)
	v_pk_mul_f16 v15, v9, v6 op_sel_hi:[0,1]
	s_delay_alu instid0(VALU_DEP_2) | instskip(SKIP_2) | instid1(VALU_DEP_3)
	v_pk_fma_f16 v8, v9, v6, v5 op_sel:[1,0,0]
	v_pk_fma_f16 v16, v9, v6, v5 op_sel:[1,0,0] neg_lo:[1,0,0] neg_hi:[1,0,0]
	v_pk_fma_f16 v5, v9, v6, v5 op_sel:[1,0,0] neg_lo:[0,0,1] neg_hi:[0,0,1]
	v_pk_add_f16 v6, v8, v15 op_sel:[0,1] op_sel_hi:[1,0]
	v_pk_add_f16 v8, v8, v15 op_sel:[0,1] op_sel_hi:[1,0] neg_lo:[0,1] neg_hi:[0,1]
	s_delay_alu instid0(VALU_DEP_4) | instskip(NEXT) | instid1(VALU_DEP_4)
	v_pk_add_f16 v9, v16, v15 op_sel:[0,1] op_sel_hi:[1,0] neg_lo:[0,1] neg_hi:[0,1]
	v_pk_add_f16 v5, v5, v15 op_sel:[0,1] op_sel_hi:[1,0] neg_lo:[0,1] neg_hi:[0,1]
	s_delay_alu instid0(VALU_DEP_3) | instskip(NEXT) | instid1(VALU_DEP_2)
	v_bfi_b32 v6, 0xffff, v6, v8
	v_bfi_b32 v5, 0xffff, v9, v5
	ds_store_b32 v71, v6
	ds_store_b32 v4, v5 offset:8160
	ds_load_b32 v5, v72
	ds_load_b32 v6, v4 offset:7920
	s_waitcnt lgkmcnt(0)
	v_pk_add_f16 v8, v5, v6 neg_lo:[0,1] neg_hi:[0,1]
	v_pk_add_f16 v5, v5, v6
	s_delay_alu instid0(VALU_DEP_1) | instskip(SKIP_1) | instid1(VALU_DEP_2)
	v_bfi_b32 v6, 0xffff, v8, v5
	v_bfi_b32 v5, 0xffff, v5, v8
	v_pk_mul_f16 v6, v6, 0.5 op_sel_hi:[1,0]
	s_delay_alu instid0(VALU_DEP_2) | instskip(SKIP_1) | instid1(VALU_DEP_2)
	v_pk_mul_f16 v5, v5, 0.5 op_sel_hi:[1,0]
	s_waitcnt vmcnt(5)
	v_pk_mul_f16 v9, v10, v6 op_sel_hi:[0,1]
	s_delay_alu instid0(VALU_DEP_2) | instskip(SKIP_2) | instid1(VALU_DEP_3)
	v_pk_fma_f16 v8, v10, v6, v5 op_sel:[1,0,0]
	v_pk_fma_f16 v15, v10, v6, v5 op_sel:[1,0,0] neg_lo:[1,0,0] neg_hi:[1,0,0]
	v_pk_fma_f16 v5, v10, v6, v5 op_sel:[1,0,0] neg_lo:[0,0,1] neg_hi:[0,0,1]
	v_pk_add_f16 v6, v8, v9 op_sel:[0,1] op_sel_hi:[1,0]
	v_pk_add_f16 v8, v8, v9 op_sel:[0,1] op_sel_hi:[1,0] neg_lo:[0,1] neg_hi:[0,1]
	s_delay_alu instid0(VALU_DEP_4) | instskip(NEXT) | instid1(VALU_DEP_4)
	v_pk_add_f16 v10, v15, v9 op_sel:[0,1] op_sel_hi:[1,0] neg_lo:[0,1] neg_hi:[0,1]
	v_pk_add_f16 v5, v5, v9 op_sel:[0,1] op_sel_hi:[1,0] neg_lo:[0,1] neg_hi:[0,1]
	s_delay_alu instid0(VALU_DEP_3) | instskip(NEXT) | instid1(VALU_DEP_2)
	v_bfi_b32 v6, 0xffff, v6, v8
	v_bfi_b32 v5, 0xffff, v10, v5
	ds_store_b32 v72, v6
	ds_store_b32 v4, v5 offset:7920
	ds_load_b32 v5, v62 offset:960
	ds_load_b32 v6, v4 offset:7680
	global_load_b32 v8, v[2:3], off offset:2160
	s_waitcnt lgkmcnt(0)
	v_pk_add_f16 v9, v5, v6 neg_lo:[0,1] neg_hi:[0,1]
	v_pk_add_f16 v5, v5, v6
	s_delay_alu instid0(VALU_DEP_1) | instskip(SKIP_1) | instid1(VALU_DEP_2)
	v_bfi_b32 v6, 0xffff, v9, v5
	v_bfi_b32 v5, 0xffff, v5, v9
	v_pk_mul_f16 v6, v6, 0.5 op_sel_hi:[1,0]
	s_delay_alu instid0(VALU_DEP_2) | instskip(SKIP_1) | instid1(VALU_DEP_2)
	v_pk_mul_f16 v5, v5, 0.5 op_sel_hi:[1,0]
	s_waitcnt vmcnt(5)
	v_pk_mul_f16 v10, v11, v6 op_sel_hi:[0,1]
	s_delay_alu instid0(VALU_DEP_2) | instskip(SKIP_2) | instid1(VALU_DEP_3)
	v_pk_fma_f16 v9, v11, v6, v5 op_sel:[1,0,0]
	v_pk_fma_f16 v15, v11, v6, v5 op_sel:[1,0,0] neg_lo:[1,0,0] neg_hi:[1,0,0]
	v_pk_fma_f16 v5, v11, v6, v5 op_sel:[1,0,0] neg_lo:[0,0,1] neg_hi:[0,0,1]
	v_pk_add_f16 v6, v9, v10 op_sel:[0,1] op_sel_hi:[1,0]
	v_pk_add_f16 v9, v9, v10 op_sel:[0,1] op_sel_hi:[1,0] neg_lo:[0,1] neg_hi:[0,1]
	s_delay_alu instid0(VALU_DEP_4) | instskip(NEXT) | instid1(VALU_DEP_4)
	v_pk_add_f16 v11, v15, v10 op_sel:[0,1] op_sel_hi:[1,0] neg_lo:[0,1] neg_hi:[0,1]
	v_pk_add_f16 v5, v5, v10 op_sel:[0,1] op_sel_hi:[1,0] neg_lo:[0,1] neg_hi:[0,1]
	s_delay_alu instid0(VALU_DEP_3) | instskip(NEXT) | instid1(VALU_DEP_2)
	v_bfi_b32 v6, 0xffff, v6, v9
	v_bfi_b32 v5, 0xffff, v11, v5
	ds_store_b32 v62, v6 offset:960
	ds_store_b32 v4, v5 offset:7680
	ds_load_b32 v5, v62 offset:1200
	ds_load_b32 v6, v4 offset:7440
	global_load_b32 v9, v[2:3], off offset:2400
	s_waitcnt lgkmcnt(0)
	v_pk_add_f16 v10, v5, v6 neg_lo:[0,1] neg_hi:[0,1]
	v_pk_add_f16 v5, v5, v6
	s_delay_alu instid0(VALU_DEP_1) | instskip(SKIP_1) | instid1(VALU_DEP_2)
	v_bfi_b32 v6, 0xffff, v10, v5
	v_bfi_b32 v5, 0xffff, v5, v10
	v_pk_mul_f16 v6, v6, 0.5 op_sel_hi:[1,0]
	s_delay_alu instid0(VALU_DEP_2) | instskip(SKIP_1) | instid1(VALU_DEP_2)
	v_pk_mul_f16 v5, v5, 0.5 op_sel_hi:[1,0]
	s_waitcnt vmcnt(5)
	v_pk_mul_f16 v11, v12, v6 op_sel_hi:[0,1]
	s_delay_alu instid0(VALU_DEP_2) | instskip(SKIP_2) | instid1(VALU_DEP_3)
	v_pk_fma_f16 v10, v12, v6, v5 op_sel:[1,0,0]
	v_pk_fma_f16 v15, v12, v6, v5 op_sel:[1,0,0] neg_lo:[1,0,0] neg_hi:[1,0,0]
	v_pk_fma_f16 v5, v12, v6, v5 op_sel:[1,0,0] neg_lo:[0,0,1] neg_hi:[0,0,1]
	v_pk_add_f16 v6, v10, v11 op_sel:[0,1] op_sel_hi:[1,0]
	v_pk_add_f16 v10, v10, v11 op_sel:[0,1] op_sel_hi:[1,0] neg_lo:[0,1] neg_hi:[0,1]
	s_delay_alu instid0(VALU_DEP_4) | instskip(NEXT) | instid1(VALU_DEP_4)
	v_pk_add_f16 v12, v15, v11 op_sel:[0,1] op_sel_hi:[1,0] neg_lo:[0,1] neg_hi:[0,1]
	v_pk_add_f16 v5, v5, v11 op_sel:[0,1] op_sel_hi:[1,0] neg_lo:[0,1] neg_hi:[0,1]
	s_delay_alu instid0(VALU_DEP_3) | instskip(NEXT) | instid1(VALU_DEP_2)
	v_bfi_b32 v6, 0xffff, v6, v10
	v_bfi_b32 v5, 0xffff, v12, v5
	ds_store_b32 v62, v6 offset:1200
	ds_store_b32 v4, v5 offset:7440
	ds_load_b32 v5, v62 offset:1440
	ds_load_b32 v6, v4 offset:7200
	global_load_b32 v10, v[2:3], off offset:2640
	s_waitcnt lgkmcnt(0)
	v_pk_add_f16 v11, v5, v6 neg_lo:[0,1] neg_hi:[0,1]
	v_pk_add_f16 v5, v5, v6
	s_delay_alu instid0(VALU_DEP_1) | instskip(SKIP_1) | instid1(VALU_DEP_2)
	v_bfi_b32 v6, 0xffff, v11, v5
	v_bfi_b32 v5, 0xffff, v5, v11
	v_pk_mul_f16 v6, v6, 0.5 op_sel_hi:[1,0]
	s_delay_alu instid0(VALU_DEP_2) | instskip(SKIP_1) | instid1(VALU_DEP_2)
	v_pk_mul_f16 v5, v5, 0.5 op_sel_hi:[1,0]
	s_waitcnt vmcnt(5)
	v_pk_mul_f16 v12, v7, v6 op_sel_hi:[0,1]
	s_delay_alu instid0(VALU_DEP_2) | instskip(SKIP_2) | instid1(VALU_DEP_3)
	v_pk_fma_f16 v11, v7, v6, v5 op_sel:[1,0,0]
	v_pk_fma_f16 v15, v7, v6, v5 op_sel:[1,0,0] neg_lo:[1,0,0] neg_hi:[1,0,0]
	v_pk_fma_f16 v5, v7, v6, v5 op_sel:[1,0,0] neg_lo:[0,0,1] neg_hi:[0,0,1]
	v_pk_add_f16 v6, v11, v12 op_sel:[0,1] op_sel_hi:[1,0]
	v_pk_add_f16 v7, v11, v12 op_sel:[0,1] op_sel_hi:[1,0] neg_lo:[0,1] neg_hi:[0,1]
	s_delay_alu instid0(VALU_DEP_4) | instskip(NEXT) | instid1(VALU_DEP_4)
	v_pk_add_f16 v11, v15, v12 op_sel:[0,1] op_sel_hi:[1,0] neg_lo:[0,1] neg_hi:[0,1]
	v_pk_add_f16 v5, v5, v12 op_sel:[0,1] op_sel_hi:[1,0] neg_lo:[0,1] neg_hi:[0,1]
	s_delay_alu instid0(VALU_DEP_3) | instskip(NEXT) | instid1(VALU_DEP_2)
	v_bfi_b32 v6, 0xffff, v6, v7
	v_bfi_b32 v5, 0xffff, v11, v5
	ds_store_b32 v62, v6 offset:1440
	ds_store_b32 v4, v5 offset:7200
	ds_load_b32 v5, v62 offset:1680
	ds_load_b32 v6, v4 offset:6960
	global_load_b32 v7, v[2:3], off offset:2880
	s_waitcnt lgkmcnt(0)
	v_pk_add_f16 v11, v5, v6 neg_lo:[0,1] neg_hi:[0,1]
	v_pk_add_f16 v5, v5, v6
	s_delay_alu instid0(VALU_DEP_1) | instskip(SKIP_1) | instid1(VALU_DEP_2)
	v_bfi_b32 v6, 0xffff, v11, v5
	v_bfi_b32 v5, 0xffff, v5, v11
	v_pk_mul_f16 v6, v6, 0.5 op_sel_hi:[1,0]
	s_delay_alu instid0(VALU_DEP_2) | instskip(SKIP_1) | instid1(VALU_DEP_2)
	v_pk_mul_f16 v5, v5, 0.5 op_sel_hi:[1,0]
	s_waitcnt vmcnt(5)
	v_pk_mul_f16 v12, v13, v6 op_sel_hi:[0,1]
	s_delay_alu instid0(VALU_DEP_2) | instskip(SKIP_2) | instid1(VALU_DEP_3)
	v_pk_fma_f16 v11, v13, v6, v5 op_sel:[1,0,0]
	v_pk_fma_f16 v15, v13, v6, v5 op_sel:[1,0,0] neg_lo:[1,0,0] neg_hi:[1,0,0]
	v_pk_fma_f16 v5, v13, v6, v5 op_sel:[1,0,0] neg_lo:[0,0,1] neg_hi:[0,0,1]
	v_pk_add_f16 v6, v11, v12 op_sel:[0,1] op_sel_hi:[1,0]
	v_pk_add_f16 v11, v11, v12 op_sel:[0,1] op_sel_hi:[1,0] neg_lo:[0,1] neg_hi:[0,1]
	s_delay_alu instid0(VALU_DEP_4) | instskip(NEXT) | instid1(VALU_DEP_4)
	v_pk_add_f16 v13, v15, v12 op_sel:[0,1] op_sel_hi:[1,0] neg_lo:[0,1] neg_hi:[0,1]
	v_pk_add_f16 v5, v5, v12 op_sel:[0,1] op_sel_hi:[1,0] neg_lo:[0,1] neg_hi:[0,1]
	s_delay_alu instid0(VALU_DEP_3) | instskip(NEXT) | instid1(VALU_DEP_2)
	v_bfi_b32 v6, 0xffff, v6, v11
	v_bfi_b32 v5, 0xffff, v13, v5
	ds_store_b32 v62, v6 offset:1680
	ds_store_b32 v4, v5 offset:6960
	ds_load_b32 v5, v62 offset:1920
	ds_load_b32 v6, v4 offset:6720
	global_load_b32 v11, v[2:3], off offset:3120
	s_waitcnt lgkmcnt(0)
	v_pk_add_f16 v12, v5, v6 neg_lo:[0,1] neg_hi:[0,1]
	v_pk_add_f16 v5, v5, v6
	s_delay_alu instid0(VALU_DEP_1) | instskip(SKIP_1) | instid1(VALU_DEP_2)
	v_bfi_b32 v6, 0xffff, v12, v5
	v_bfi_b32 v5, 0xffff, v5, v12
	v_pk_mul_f16 v6, v6, 0.5 op_sel_hi:[1,0]
	s_delay_alu instid0(VALU_DEP_2) | instskip(SKIP_1) | instid1(VALU_DEP_2)
	v_pk_mul_f16 v5, v5, 0.5 op_sel_hi:[1,0]
	s_waitcnt vmcnt(5)
	v_pk_mul_f16 v13, v14, v6 op_sel_hi:[0,1]
	s_delay_alu instid0(VALU_DEP_2) | instskip(SKIP_2) | instid1(VALU_DEP_3)
	v_pk_fma_f16 v12, v14, v6, v5 op_sel:[1,0,0]
	v_pk_fma_f16 v15, v14, v6, v5 op_sel:[1,0,0] neg_lo:[1,0,0] neg_hi:[1,0,0]
	v_pk_fma_f16 v5, v14, v6, v5 op_sel:[1,0,0] neg_lo:[0,0,1] neg_hi:[0,0,1]
	v_pk_add_f16 v6, v12, v13 op_sel:[0,1] op_sel_hi:[1,0]
	v_pk_add_f16 v12, v12, v13 op_sel:[0,1] op_sel_hi:[1,0] neg_lo:[0,1] neg_hi:[0,1]
	s_delay_alu instid0(VALU_DEP_4) | instskip(NEXT) | instid1(VALU_DEP_4)
	v_pk_add_f16 v14, v15, v13 op_sel:[0,1] op_sel_hi:[1,0] neg_lo:[0,1] neg_hi:[0,1]
	v_pk_add_f16 v5, v5, v13 op_sel:[0,1] op_sel_hi:[1,0] neg_lo:[0,1] neg_hi:[0,1]
	s_delay_alu instid0(VALU_DEP_3) | instskip(NEXT) | instid1(VALU_DEP_2)
	v_bfi_b32 v6, 0xffff, v6, v12
	v_bfi_b32 v5, 0xffff, v14, v5
	ds_store_b32 v62, v6 offset:1920
	ds_store_b32 v4, v5 offset:6720
	ds_load_b32 v5, v62 offset:2160
	ds_load_b32 v6, v4 offset:6480
	global_load_b32 v12, v[2:3], off offset:3360
	s_waitcnt lgkmcnt(0)
	v_pk_add_f16 v13, v5, v6 neg_lo:[0,1] neg_hi:[0,1]
	v_pk_add_f16 v5, v5, v6
	s_delay_alu instid0(VALU_DEP_1)
	v_bfi_b32 v6, 0xffff, v13, v5
	v_bfi_b32 v5, 0xffff, v5, v13
	s_clause 0x1
	global_load_b32 v13, v[2:3], off offset:3600
	global_load_b32 v14, v[2:3], off offset:3840
	v_pk_mul_f16 v6, v6, 0.5 op_sel_hi:[1,0]
	v_pk_mul_f16 v5, v5, 0.5 op_sel_hi:[1,0]
	s_waitcnt vmcnt(7)
	s_delay_alu instid0(VALU_DEP_1) | instskip(SKIP_3) | instid1(VALU_DEP_3)
	v_pk_fma_f16 v15, v8, v6, v5 op_sel:[1,0,0]
	v_pk_mul_f16 v16, v8, v6 op_sel_hi:[0,1]
	v_pk_fma_f16 v17, v8, v6, v5 op_sel:[1,0,0] neg_lo:[1,0,0] neg_hi:[1,0,0]
	v_pk_fma_f16 v5, v8, v6, v5 op_sel:[1,0,0] neg_lo:[0,0,1] neg_hi:[0,0,1]
	v_pk_add_f16 v6, v15, v16 op_sel:[0,1] op_sel_hi:[1,0]
	v_pk_add_f16 v8, v15, v16 op_sel:[0,1] op_sel_hi:[1,0] neg_lo:[0,1] neg_hi:[0,1]
	s_delay_alu instid0(VALU_DEP_4) | instskip(NEXT) | instid1(VALU_DEP_4)
	v_pk_add_f16 v15, v17, v16 op_sel:[0,1] op_sel_hi:[1,0] neg_lo:[0,1] neg_hi:[0,1]
	v_pk_add_f16 v5, v5, v16 op_sel:[0,1] op_sel_hi:[1,0] neg_lo:[0,1] neg_hi:[0,1]
	s_delay_alu instid0(VALU_DEP_3) | instskip(NEXT) | instid1(VALU_DEP_2)
	v_bfi_b32 v6, 0xffff, v6, v8
	v_bfi_b32 v5, 0xffff, v15, v5
	ds_store_b32 v62, v6 offset:2160
	ds_store_b32 v4, v5 offset:6480
	ds_load_b32 v5, v62 offset:2400
	ds_load_b32 v6, v4 offset:6240
	s_waitcnt lgkmcnt(0)
	v_pk_add_f16 v8, v5, v6 neg_lo:[0,1] neg_hi:[0,1]
	v_pk_add_f16 v5, v5, v6
	s_delay_alu instid0(VALU_DEP_1) | instskip(SKIP_1) | instid1(VALU_DEP_2)
	v_bfi_b32 v6, 0xffff, v8, v5
	v_bfi_b32 v5, 0xffff, v5, v8
	v_pk_mul_f16 v6, v6, 0.5 op_sel_hi:[1,0]
	s_delay_alu instid0(VALU_DEP_2) | instskip(SKIP_1) | instid1(VALU_DEP_2)
	v_pk_mul_f16 v5, v5, 0.5 op_sel_hi:[1,0]
	s_waitcnt vmcnt(6)
	v_pk_mul_f16 v15, v9, v6 op_sel_hi:[0,1]
	s_delay_alu instid0(VALU_DEP_2) | instskip(SKIP_2) | instid1(VALU_DEP_3)
	v_pk_fma_f16 v8, v9, v6, v5 op_sel:[1,0,0]
	v_pk_fma_f16 v16, v9, v6, v5 op_sel:[1,0,0] neg_lo:[1,0,0] neg_hi:[1,0,0]
	v_pk_fma_f16 v5, v9, v6, v5 op_sel:[1,0,0] neg_lo:[0,0,1] neg_hi:[0,0,1]
	v_pk_add_f16 v6, v8, v15 op_sel:[0,1] op_sel_hi:[1,0]
	v_pk_add_f16 v8, v8, v15 op_sel:[0,1] op_sel_hi:[1,0] neg_lo:[0,1] neg_hi:[0,1]
	s_delay_alu instid0(VALU_DEP_4) | instskip(NEXT) | instid1(VALU_DEP_4)
	v_pk_add_f16 v9, v16, v15 op_sel:[0,1] op_sel_hi:[1,0] neg_lo:[0,1] neg_hi:[0,1]
	v_pk_add_f16 v5, v5, v15 op_sel:[0,1] op_sel_hi:[1,0] neg_lo:[0,1] neg_hi:[0,1]
	s_delay_alu instid0(VALU_DEP_3) | instskip(NEXT) | instid1(VALU_DEP_2)
	v_bfi_b32 v6, 0xffff, v6, v8
	v_bfi_b32 v5, 0xffff, v9, v5
	ds_store_b32 v62, v6 offset:2400
	ds_store_b32 v4, v5 offset:6240
	ds_load_b32 v5, v62 offset:2640
	ds_load_b32 v6, v4 offset:6000
	s_waitcnt lgkmcnt(0)
	v_pk_add_f16 v8, v5, v6 neg_lo:[0,1] neg_hi:[0,1]
	v_pk_add_f16 v5, v5, v6
	s_delay_alu instid0(VALU_DEP_1) | instskip(SKIP_1) | instid1(VALU_DEP_2)
	v_bfi_b32 v6, 0xffff, v8, v5
	v_bfi_b32 v5, 0xffff, v5, v8
	v_pk_mul_f16 v6, v6, 0.5 op_sel_hi:[1,0]
	s_delay_alu instid0(VALU_DEP_2) | instskip(SKIP_1) | instid1(VALU_DEP_2)
	v_pk_mul_f16 v5, v5, 0.5 op_sel_hi:[1,0]
	s_waitcnt vmcnt(5)
	v_pk_mul_f16 v9, v10, v6 op_sel_hi:[0,1]
	s_delay_alu instid0(VALU_DEP_2) | instskip(SKIP_2) | instid1(VALU_DEP_3)
	v_pk_fma_f16 v8, v10, v6, v5 op_sel:[1,0,0]
	v_pk_fma_f16 v15, v10, v6, v5 op_sel:[1,0,0] neg_lo:[1,0,0] neg_hi:[1,0,0]
	v_pk_fma_f16 v5, v10, v6, v5 op_sel:[1,0,0] neg_lo:[0,0,1] neg_hi:[0,0,1]
	v_pk_add_f16 v6, v8, v9 op_sel:[0,1] op_sel_hi:[1,0]
	v_pk_add_f16 v8, v8, v9 op_sel:[0,1] op_sel_hi:[1,0] neg_lo:[0,1] neg_hi:[0,1]
	s_delay_alu instid0(VALU_DEP_4) | instskip(NEXT) | instid1(VALU_DEP_4)
	v_pk_add_f16 v10, v15, v9 op_sel:[0,1] op_sel_hi:[1,0] neg_lo:[0,1] neg_hi:[0,1]
	v_pk_add_f16 v5, v5, v9 op_sel:[0,1] op_sel_hi:[1,0] neg_lo:[0,1] neg_hi:[0,1]
	s_delay_alu instid0(VALU_DEP_3) | instskip(NEXT) | instid1(VALU_DEP_2)
	v_bfi_b32 v6, 0xffff, v6, v8
	v_bfi_b32 v5, 0xffff, v10, v5
	ds_store_b32 v62, v6 offset:2640
	ds_store_b32 v4, v5 offset:6000
	ds_load_b32 v5, v62 offset:2880
	ds_load_b32 v6, v4 offset:5760
	global_load_b32 v2, v[2:3], off offset:4080
	s_waitcnt lgkmcnt(0)
	v_pk_add_f16 v3, v5, v6 neg_lo:[0,1] neg_hi:[0,1]
	v_pk_add_f16 v5, v5, v6
	s_delay_alu instid0(VALU_DEP_1) | instskip(SKIP_1) | instid1(VALU_DEP_2)
	v_bfi_b32 v6, 0xffff, v3, v5
	v_bfi_b32 v3, 0xffff, v5, v3
	v_pk_mul_f16 v5, v6, 0.5 op_sel_hi:[1,0]
	s_delay_alu instid0(VALU_DEP_2) | instskip(SKIP_1) | instid1(VALU_DEP_2)
	v_pk_mul_f16 v3, v3, 0.5 op_sel_hi:[1,0]
	s_waitcnt vmcnt(5)
	v_pk_mul_f16 v8, v7, v5 op_sel_hi:[0,1]
	s_delay_alu instid0(VALU_DEP_2) | instskip(SKIP_2) | instid1(VALU_DEP_3)
	v_pk_fma_f16 v6, v7, v5, v3 op_sel:[1,0,0]
	v_pk_fma_f16 v9, v7, v5, v3 op_sel:[1,0,0] neg_lo:[1,0,0] neg_hi:[1,0,0]
	v_pk_fma_f16 v3, v7, v5, v3 op_sel:[1,0,0] neg_lo:[0,0,1] neg_hi:[0,0,1]
	v_pk_add_f16 v5, v6, v8 op_sel:[0,1] op_sel_hi:[1,0]
	v_pk_add_f16 v6, v6, v8 op_sel:[0,1] op_sel_hi:[1,0] neg_lo:[0,1] neg_hi:[0,1]
	s_delay_alu instid0(VALU_DEP_4) | instskip(NEXT) | instid1(VALU_DEP_4)
	v_pk_add_f16 v7, v9, v8 op_sel:[0,1] op_sel_hi:[1,0] neg_lo:[0,1] neg_hi:[0,1]
	v_pk_add_f16 v3, v3, v8 op_sel:[0,1] op_sel_hi:[1,0] neg_lo:[0,1] neg_hi:[0,1]
	s_delay_alu instid0(VALU_DEP_3) | instskip(NEXT) | instid1(VALU_DEP_2)
	v_bfi_b32 v5, 0xffff, v5, v6
	v_bfi_b32 v3, 0xffff, v7, v3
	ds_store_b32 v62, v5 offset:2880
	ds_store_b32 v4, v3 offset:5760
	ds_load_b32 v3, v62 offset:3120
	ds_load_b32 v5, v4 offset:5520
	s_waitcnt lgkmcnt(0)
	v_pk_add_f16 v6, v3, v5 neg_lo:[0,1] neg_hi:[0,1]
	v_pk_add_f16 v3, v3, v5
	s_delay_alu instid0(VALU_DEP_1) | instskip(SKIP_1) | instid1(VALU_DEP_2)
	v_bfi_b32 v5, 0xffff, v6, v3
	v_bfi_b32 v3, 0xffff, v3, v6
	v_pk_mul_f16 v5, v5, 0.5 op_sel_hi:[1,0]
	s_delay_alu instid0(VALU_DEP_2) | instskip(SKIP_1) | instid1(VALU_DEP_2)
	v_pk_mul_f16 v3, v3, 0.5 op_sel_hi:[1,0]
	s_waitcnt vmcnt(4)
	v_pk_mul_f16 v7, v11, v5 op_sel_hi:[0,1]
	s_delay_alu instid0(VALU_DEP_2) | instskip(SKIP_2) | instid1(VALU_DEP_3)
	v_pk_fma_f16 v6, v11, v5, v3 op_sel:[1,0,0]
	v_pk_fma_f16 v8, v11, v5, v3 op_sel:[1,0,0] neg_lo:[1,0,0] neg_hi:[1,0,0]
	v_pk_fma_f16 v3, v11, v5, v3 op_sel:[1,0,0] neg_lo:[0,0,1] neg_hi:[0,0,1]
	v_pk_add_f16 v5, v6, v7 op_sel:[0,1] op_sel_hi:[1,0]
	v_pk_add_f16 v6, v6, v7 op_sel:[0,1] op_sel_hi:[1,0] neg_lo:[0,1] neg_hi:[0,1]
	s_delay_alu instid0(VALU_DEP_4) | instskip(NEXT) | instid1(VALU_DEP_4)
	v_pk_add_f16 v8, v8, v7 op_sel:[0,1] op_sel_hi:[1,0] neg_lo:[0,1] neg_hi:[0,1]
	v_pk_add_f16 v3, v3, v7 op_sel:[0,1] op_sel_hi:[1,0] neg_lo:[0,1] neg_hi:[0,1]
	s_delay_alu instid0(VALU_DEP_3) | instskip(NEXT) | instid1(VALU_DEP_2)
	v_bfi_b32 v5, 0xffff, v5, v6
	v_bfi_b32 v3, 0xffff, v8, v3
	ds_store_b32 v62, v5 offset:3120
	ds_store_b32 v4, v3 offset:5520
	ds_load_b32 v3, v62 offset:3360
	ds_load_b32 v5, v4 offset:5280
	s_waitcnt lgkmcnt(0)
	v_pk_add_f16 v6, v3, v5 neg_lo:[0,1] neg_hi:[0,1]
	v_pk_add_f16 v3, v3, v5
	s_delay_alu instid0(VALU_DEP_1) | instskip(SKIP_1) | instid1(VALU_DEP_2)
	v_bfi_b32 v5, 0xffff, v6, v3
	v_bfi_b32 v3, 0xffff, v3, v6
	v_pk_mul_f16 v5, v5, 0.5 op_sel_hi:[1,0]
	s_delay_alu instid0(VALU_DEP_2) | instskip(SKIP_1) | instid1(VALU_DEP_2)
	v_pk_mul_f16 v3, v3, 0.5 op_sel_hi:[1,0]
	s_waitcnt vmcnt(3)
	v_pk_mul_f16 v7, v12, v5 op_sel_hi:[0,1]
	s_delay_alu instid0(VALU_DEP_2) | instskip(SKIP_2) | instid1(VALU_DEP_3)
	v_pk_fma_f16 v6, v12, v5, v3 op_sel:[1,0,0]
	v_pk_fma_f16 v8, v12, v5, v3 op_sel:[1,0,0] neg_lo:[1,0,0] neg_hi:[1,0,0]
	v_pk_fma_f16 v3, v12, v5, v3 op_sel:[1,0,0] neg_lo:[0,0,1] neg_hi:[0,0,1]
	v_pk_add_f16 v5, v6, v7 op_sel:[0,1] op_sel_hi:[1,0]
	v_pk_add_f16 v6, v6, v7 op_sel:[0,1] op_sel_hi:[1,0] neg_lo:[0,1] neg_hi:[0,1]
	s_delay_alu instid0(VALU_DEP_4) | instskip(NEXT) | instid1(VALU_DEP_4)
	v_pk_add_f16 v8, v8, v7 op_sel:[0,1] op_sel_hi:[1,0] neg_lo:[0,1] neg_hi:[0,1]
	v_pk_add_f16 v3, v3, v7 op_sel:[0,1] op_sel_hi:[1,0] neg_lo:[0,1] neg_hi:[0,1]
	s_delay_alu instid0(VALU_DEP_3) | instskip(NEXT) | instid1(VALU_DEP_2)
	v_bfi_b32 v5, 0xffff, v5, v6
	v_bfi_b32 v3, 0xffff, v8, v3
	ds_store_b32 v62, v5 offset:3360
	ds_store_b32 v4, v3 offset:5280
	ds_load_b32 v3, v62 offset:3600
	ds_load_b32 v5, v4 offset:5040
	s_waitcnt lgkmcnt(0)
	v_pk_add_f16 v6, v3, v5 neg_lo:[0,1] neg_hi:[0,1]
	v_pk_add_f16 v3, v3, v5
	s_delay_alu instid0(VALU_DEP_1) | instskip(SKIP_1) | instid1(VALU_DEP_2)
	v_bfi_b32 v5, 0xffff, v6, v3
	v_bfi_b32 v3, 0xffff, v3, v6
	v_pk_mul_f16 v5, v5, 0.5 op_sel_hi:[1,0]
	s_delay_alu instid0(VALU_DEP_2) | instskip(SKIP_1) | instid1(VALU_DEP_2)
	v_pk_mul_f16 v3, v3, 0.5 op_sel_hi:[1,0]
	s_waitcnt vmcnt(2)
	v_pk_mul_f16 v7, v13, v5 op_sel_hi:[0,1]
	s_delay_alu instid0(VALU_DEP_2) | instskip(SKIP_2) | instid1(VALU_DEP_3)
	v_pk_fma_f16 v6, v13, v5, v3 op_sel:[1,0,0]
	v_pk_fma_f16 v8, v13, v5, v3 op_sel:[1,0,0] neg_lo:[1,0,0] neg_hi:[1,0,0]
	v_pk_fma_f16 v3, v13, v5, v3 op_sel:[1,0,0] neg_lo:[0,0,1] neg_hi:[0,0,1]
	v_pk_add_f16 v5, v6, v7 op_sel:[0,1] op_sel_hi:[1,0]
	v_pk_add_f16 v6, v6, v7 op_sel:[0,1] op_sel_hi:[1,0] neg_lo:[0,1] neg_hi:[0,1]
	s_delay_alu instid0(VALU_DEP_4) | instskip(NEXT) | instid1(VALU_DEP_4)
	v_pk_add_f16 v8, v8, v7 op_sel:[0,1] op_sel_hi:[1,0] neg_lo:[0,1] neg_hi:[0,1]
	v_pk_add_f16 v3, v3, v7 op_sel:[0,1] op_sel_hi:[1,0] neg_lo:[0,1] neg_hi:[0,1]
	s_delay_alu instid0(VALU_DEP_3) | instskip(NEXT) | instid1(VALU_DEP_2)
	v_bfi_b32 v5, 0xffff, v5, v6
	v_bfi_b32 v3, 0xffff, v8, v3
	ds_store_b32 v62, v5 offset:3600
	ds_store_b32 v4, v3 offset:5040
	ds_load_b32 v3, v62 offset:3840
	ds_load_b32 v5, v4 offset:4800
	s_waitcnt lgkmcnt(0)
	v_pk_add_f16 v6, v3, v5 neg_lo:[0,1] neg_hi:[0,1]
	v_pk_add_f16 v3, v3, v5
	s_delay_alu instid0(VALU_DEP_1) | instskip(SKIP_1) | instid1(VALU_DEP_2)
	v_bfi_b32 v5, 0xffff, v6, v3
	v_bfi_b32 v3, 0xffff, v3, v6
	v_pk_mul_f16 v5, v5, 0.5 op_sel_hi:[1,0]
	s_delay_alu instid0(VALU_DEP_2) | instskip(SKIP_1) | instid1(VALU_DEP_2)
	v_pk_mul_f16 v3, v3, 0.5 op_sel_hi:[1,0]
	s_waitcnt vmcnt(1)
	v_pk_mul_f16 v7, v14, v5 op_sel_hi:[0,1]
	s_delay_alu instid0(VALU_DEP_2) | instskip(SKIP_2) | instid1(VALU_DEP_3)
	v_pk_fma_f16 v6, v14, v5, v3 op_sel:[1,0,0]
	v_pk_fma_f16 v8, v14, v5, v3 op_sel:[1,0,0] neg_lo:[1,0,0] neg_hi:[1,0,0]
	v_pk_fma_f16 v3, v14, v5, v3 op_sel:[1,0,0] neg_lo:[0,0,1] neg_hi:[0,0,1]
	v_pk_add_f16 v5, v6, v7 op_sel:[0,1] op_sel_hi:[1,0]
	v_pk_add_f16 v6, v6, v7 op_sel:[0,1] op_sel_hi:[1,0] neg_lo:[0,1] neg_hi:[0,1]
	s_delay_alu instid0(VALU_DEP_4) | instskip(NEXT) | instid1(VALU_DEP_4)
	v_pk_add_f16 v8, v8, v7 op_sel:[0,1] op_sel_hi:[1,0] neg_lo:[0,1] neg_hi:[0,1]
	v_pk_add_f16 v3, v3, v7 op_sel:[0,1] op_sel_hi:[1,0] neg_lo:[0,1] neg_hi:[0,1]
	s_delay_alu instid0(VALU_DEP_3) | instskip(NEXT) | instid1(VALU_DEP_2)
	v_bfi_b32 v5, 0xffff, v5, v6
	v_bfi_b32 v3, 0xffff, v8, v3
	ds_store_b32 v62, v5 offset:3840
	ds_store_b32 v4, v3 offset:4800
	ds_load_b32 v3, v62 offset:4080
	ds_load_b32 v5, v4 offset:4560
	s_waitcnt lgkmcnt(0)
	v_pk_add_f16 v6, v3, v5 neg_lo:[0,1] neg_hi:[0,1]
	v_pk_add_f16 v3, v3, v5
	s_delay_alu instid0(VALU_DEP_1) | instskip(SKIP_1) | instid1(VALU_DEP_2)
	v_bfi_b32 v5, 0xffff, v6, v3
	v_bfi_b32 v3, 0xffff, v3, v6
	v_pk_mul_f16 v5, v5, 0.5 op_sel_hi:[1,0]
	s_delay_alu instid0(VALU_DEP_2) | instskip(SKIP_1) | instid1(VALU_DEP_1)
	v_pk_mul_f16 v3, v3, 0.5 op_sel_hi:[1,0]
	s_waitcnt vmcnt(0)
	v_pk_fma_f16 v6, v2, v5, v3 op_sel:[1,0,0]
	v_pk_mul_f16 v7, v2, v5 op_sel_hi:[0,1]
	v_pk_fma_f16 v8, v2, v5, v3 op_sel:[1,0,0] neg_lo:[1,0,0] neg_hi:[1,0,0]
	v_pk_fma_f16 v2, v2, v5, v3 op_sel:[1,0,0] neg_lo:[0,0,1] neg_hi:[0,0,1]
	s_delay_alu instid0(VALU_DEP_3) | instskip(SKIP_1) | instid1(VALU_DEP_4)
	v_pk_add_f16 v3, v6, v7 op_sel:[0,1] op_sel_hi:[1,0]
	v_pk_add_f16 v5, v6, v7 op_sel:[0,1] op_sel_hi:[1,0] neg_lo:[0,1] neg_hi:[0,1]
	v_pk_add_f16 v6, v8, v7 op_sel:[0,1] op_sel_hi:[1,0] neg_lo:[0,1] neg_hi:[0,1]
	s_delay_alu instid0(VALU_DEP_4) | instskip(NEXT) | instid1(VALU_DEP_3)
	v_pk_add_f16 v2, v2, v7 op_sel:[0,1] op_sel_hi:[1,0] neg_lo:[0,1] neg_hi:[0,1]
	v_bfi_b32 v3, 0xffff, v3, v5
	s_delay_alu instid0(VALU_DEP_2)
	v_bfi_b32 v2, 0xffff, v6, v2
	ds_store_b32 v62, v3 offset:4080
	ds_store_b32 v4, v2 offset:4560
	s_waitcnt lgkmcnt(0)
	s_barrier
	buffer_gl0_inv
	s_and_saveexec_b32 s0, vcc_lo
	s_cbranch_execz .LBB0_22
; %bb.20:
	v_dual_mov_b32 v29, v27 :: v_dual_add_nc_u32 v2, 0x200, v62
	v_add_nc_u32_e32 v10, 0x400, v62
	v_add_nc_u32_e32 v12, 0x600, v62
	ds_load_2addr_b32 v[4:5], v62 offset1:60
	ds_load_2addr_b32 v[6:7], v62 offset0:120 offset1:180
	ds_load_2addr_b32 v[8:9], v2 offset0:112 offset1:172
	;; [unrolled: 1-line block ×4, first 2 shown]
	v_add_co_u32 v2, vcc_lo, s8, v30
	v_add_co_ci_u32_e32 v3, vcc_lo, s9, v31, vcc_lo
	v_add_nc_u32_e32 v14, 0x800, v62
	v_add_nc_u32_e32 v16, 0xa00, v62
	;; [unrolled: 1-line block ×3, first 2 shown]
	v_add_co_u32 v0, vcc_lo, v2, v0
	v_add_co_ci_u32_e32 v1, vcc_lo, v3, v1, vcc_lo
	ds_load_2addr_b32 v[14:15], v14 offset0:88 offset1:148
	ds_load_2addr_b32 v[16:17], v16 offset0:80 offset1:140
	;; [unrolled: 1-line block ×3, first 2 shown]
	v_add_nc_u32_e32 v21, 0x1000, v62
	v_add_nc_u32_e32 v22, 0x1400, v62
	;; [unrolled: 1-line block ×3, first 2 shown]
	s_waitcnt lgkmcnt(7)
	s_clause 0x1
	global_store_b32 v[0:1], v4, off
	global_store_b32 v[0:1], v5, off offset:240
	s_waitcnt lgkmcnt(6)
	s_clause 0x1
	global_store_b32 v[0:1], v6, off offset:480
	global_store_b32 v[0:1], v7, off offset:720
	s_waitcnt lgkmcnt(5)
	s_clause 0x1
	global_store_b32 v[0:1], v8, off offset:960
	;; [unrolled: 4-line block ×3, first 2 shown]
	global_store_b32 v[0:1], v11, off offset:1680
	ds_load_2addr_b32 v[4:5], v20 offset0:192 offset1:252
	ds_load_2addr_b32 v[6:7], v21 offset0:56 offset1:116
	ds_load_2addr_b32 v[8:9], v21 offset0:176 offset1:236
	ds_load_2addr_b32 v[10:11], v22 offset0:40 offset1:100
	v_add_nc_u32_e32 v20, 0x1800, v62
	s_waitcnt lgkmcnt(7)
	s_clause 0x1
	global_store_b32 v[0:1], v12, off offset:1920
	global_store_b32 v[0:1], v13, off offset:2160
	s_waitcnt lgkmcnt(6)
	s_clause 0x1
	global_store_b32 v[0:1], v14, off offset:2400
	global_store_b32 v[0:1], v15, off offset:2640
	;; [unrolled: 4-line block ×4, first 2 shown]
	ds_load_2addr_b32 v[12:13], v22 offset0:160 offset1:220
	ds_load_2addr_b32 v[14:15], v20 offset0:24 offset1:84
	;; [unrolled: 1-line block ×3, first 2 shown]
	v_add_nc_u32_e32 v22, 0x1c00, v62
	v_add_co_u32 v18, vcc_lo, 0x1000, v0
	v_add_co_ci_u32_e32 v19, vcc_lo, 0, v1, vcc_lo
	ds_load_2addr_b32 v[20:21], v22 offset0:8 offset1:68
	s_waitcnt lgkmcnt(7)
	s_clause 0x1
	global_store_b32 v[0:1], v4, off offset:3840
	global_store_b32 v[0:1], v5, off offset:4080
	s_waitcnt lgkmcnt(6)
	s_clause 0x1
	global_store_b32 v[18:19], v6, off offset:224
	global_store_b32 v[18:19], v7, off offset:464
	;; [unrolled: 4-line block ×4, first 2 shown]
	ds_load_2addr_b32 v[4:5], v22 offset0:128 offset1:188
	ds_load_2addr_b32 v[8:9], v23 offset0:120 offset1:180
	v_lshlrev_b64 v[6:7], 2, v[28:29]
	s_waitcnt lgkmcnt(5)
	s_clause 0x1
	global_store_b32 v[18:19], v12, off offset:1664
	global_store_b32 v[18:19], v13, off offset:1904
	s_waitcnt lgkmcnt(4)
	s_clause 0x1
	global_store_b32 v[18:19], v14, off offset:2144
	global_store_b32 v[18:19], v15, off offset:2384
	;; [unrolled: 4-line block ×4, first 2 shown]
	v_add_co_u32 v6, vcc_lo, v2, v6
	v_add_co_ci_u32_e32 v7, vcc_lo, v3, v7, vcc_lo
	v_add_co_u32 v0, vcc_lo, 0x2000, v0
	v_add_co_ci_u32_e32 v1, vcc_lo, 0, v1, vcc_lo
	v_cmp_eq_u32_e32 vcc_lo, 59, v24
	s_waitcnt lgkmcnt(1)
	s_clause 0x1
	global_store_b32 v[6:7], v4, off
	global_store_b32 v[18:19], v5, off offset:3824
	s_waitcnt lgkmcnt(0)
	s_clause 0x1
	global_store_b32 v[18:19], v8, off offset:4064
	global_store_b32 v[0:1], v9, off offset:208
	s_and_b32 exec_lo, exec_lo, vcc_lo
	s_cbranch_execz .LBB0_22
; %bb.21:
	v_mov_b32_e32 v0, 0
	ds_load_b32 v4, v0 offset:8640
	v_add_co_u32 v0, vcc_lo, 0x2000, v2
	v_add_co_ci_u32_e32 v1, vcc_lo, 0, v3, vcc_lo
	s_waitcnt lgkmcnt(0)
	global_store_b32 v[0:1], v4, off offset:448
.LBB0_22:
	s_nop 0
	s_sendmsg sendmsg(MSG_DEALLOC_VGPRS)
	s_endpgm
	.section	.rodata,"a",@progbits
	.p2align	6, 0x0
	.amdhsa_kernel fft_rtc_back_len2160_factors_10_6_6_6_wgs_60_tpt_60_halfLds_half_ip_CI_unitstride_sbrr_R2C_dirReg
		.amdhsa_group_segment_fixed_size 0
		.amdhsa_private_segment_fixed_size 0
		.amdhsa_kernarg_size 88
		.amdhsa_user_sgpr_count 15
		.amdhsa_user_sgpr_dispatch_ptr 0
		.amdhsa_user_sgpr_queue_ptr 0
		.amdhsa_user_sgpr_kernarg_segment_ptr 1
		.amdhsa_user_sgpr_dispatch_id 0
		.amdhsa_user_sgpr_private_segment_size 0
		.amdhsa_wavefront_size32 1
		.amdhsa_uses_dynamic_stack 0
		.amdhsa_enable_private_segment 0
		.amdhsa_system_sgpr_workgroup_id_x 1
		.amdhsa_system_sgpr_workgroup_id_y 0
		.amdhsa_system_sgpr_workgroup_id_z 0
		.amdhsa_system_sgpr_workgroup_info 0
		.amdhsa_system_vgpr_workitem_id 0
		.amdhsa_next_free_vgpr 139
		.amdhsa_next_free_sgpr 21
		.amdhsa_reserve_vcc 1
		.amdhsa_float_round_mode_32 0
		.amdhsa_float_round_mode_16_64 0
		.amdhsa_float_denorm_mode_32 3
		.amdhsa_float_denorm_mode_16_64 3
		.amdhsa_dx10_clamp 1
		.amdhsa_ieee_mode 1
		.amdhsa_fp16_overflow 0
		.amdhsa_workgroup_processor_mode 1
		.amdhsa_memory_ordered 1
		.amdhsa_forward_progress 0
		.amdhsa_shared_vgpr_count 0
		.amdhsa_exception_fp_ieee_invalid_op 0
		.amdhsa_exception_fp_denorm_src 0
		.amdhsa_exception_fp_ieee_div_zero 0
		.amdhsa_exception_fp_ieee_overflow 0
		.amdhsa_exception_fp_ieee_underflow 0
		.amdhsa_exception_fp_ieee_inexact 0
		.amdhsa_exception_int_div_zero 0
	.end_amdhsa_kernel
	.text
.Lfunc_end0:
	.size	fft_rtc_back_len2160_factors_10_6_6_6_wgs_60_tpt_60_halfLds_half_ip_CI_unitstride_sbrr_R2C_dirReg, .Lfunc_end0-fft_rtc_back_len2160_factors_10_6_6_6_wgs_60_tpt_60_halfLds_half_ip_CI_unitstride_sbrr_R2C_dirReg
                                        ; -- End function
	.section	.AMDGPU.csdata,"",@progbits
; Kernel info:
; codeLenInByte = 22144
; NumSgprs: 23
; NumVgprs: 139
; ScratchSize: 0
; MemoryBound: 0
; FloatMode: 240
; IeeeMode: 1
; LDSByteSize: 0 bytes/workgroup (compile time only)
; SGPRBlocks: 2
; VGPRBlocks: 17
; NumSGPRsForWavesPerEU: 23
; NumVGPRsForWavesPerEU: 139
; Occupancy: 10
; WaveLimiterHint : 1
; COMPUTE_PGM_RSRC2:SCRATCH_EN: 0
; COMPUTE_PGM_RSRC2:USER_SGPR: 15
; COMPUTE_PGM_RSRC2:TRAP_HANDLER: 0
; COMPUTE_PGM_RSRC2:TGID_X_EN: 1
; COMPUTE_PGM_RSRC2:TGID_Y_EN: 0
; COMPUTE_PGM_RSRC2:TGID_Z_EN: 0
; COMPUTE_PGM_RSRC2:TIDIG_COMP_CNT: 0
	.text
	.p2alignl 7, 3214868480
	.fill 96, 4, 3214868480
	.type	__hip_cuid_14d3a935328d3485,@object ; @__hip_cuid_14d3a935328d3485
	.section	.bss,"aw",@nobits
	.globl	__hip_cuid_14d3a935328d3485
__hip_cuid_14d3a935328d3485:
	.byte	0                               ; 0x0
	.size	__hip_cuid_14d3a935328d3485, 1

	.ident	"AMD clang version 19.0.0git (https://github.com/RadeonOpenCompute/llvm-project roc-6.4.0 25133 c7fe45cf4b819c5991fe208aaa96edf142730f1d)"
	.section	".note.GNU-stack","",@progbits
	.addrsig
	.addrsig_sym __hip_cuid_14d3a935328d3485
	.amdgpu_metadata
---
amdhsa.kernels:
  - .args:
      - .actual_access:  read_only
        .address_space:  global
        .offset:         0
        .size:           8
        .value_kind:     global_buffer
      - .offset:         8
        .size:           8
        .value_kind:     by_value
      - .actual_access:  read_only
        .address_space:  global
        .offset:         16
        .size:           8
        .value_kind:     global_buffer
      - .actual_access:  read_only
        .address_space:  global
        .offset:         24
        .size:           8
        .value_kind:     global_buffer
      - .offset:         32
        .size:           8
        .value_kind:     by_value
      - .actual_access:  read_only
        .address_space:  global
        .offset:         40
        .size:           8
        .value_kind:     global_buffer
      - .actual_access:  read_only
        .address_space:  global
        .offset:         48
        .size:           8
        .value_kind:     global_buffer
      - .offset:         56
        .size:           4
        .value_kind:     by_value
      - .actual_access:  read_only
        .address_space:  global
        .offset:         64
        .size:           8
        .value_kind:     global_buffer
      - .actual_access:  read_only
        .address_space:  global
        .offset:         72
        .size:           8
        .value_kind:     global_buffer
      - .address_space:  global
        .offset:         80
        .size:           8
        .value_kind:     global_buffer
    .group_segment_fixed_size: 0
    .kernarg_segment_align: 8
    .kernarg_segment_size: 88
    .language:       OpenCL C
    .language_version:
      - 2
      - 0
    .max_flat_workgroup_size: 60
    .name:           fft_rtc_back_len2160_factors_10_6_6_6_wgs_60_tpt_60_halfLds_half_ip_CI_unitstride_sbrr_R2C_dirReg
    .private_segment_fixed_size: 0
    .sgpr_count:     23
    .sgpr_spill_count: 0
    .symbol:         fft_rtc_back_len2160_factors_10_6_6_6_wgs_60_tpt_60_halfLds_half_ip_CI_unitstride_sbrr_R2C_dirReg.kd
    .uniform_work_group_size: 1
    .uses_dynamic_stack: false
    .vgpr_count:     139
    .vgpr_spill_count: 0
    .wavefront_size: 32
    .workgroup_processor_mode: 1
amdhsa.target:   amdgcn-amd-amdhsa--gfx1100
amdhsa.version:
  - 1
  - 2
...

	.end_amdgpu_metadata
